;; amdgpu-corpus repo=ROCm/rocFFT kind=compiled arch=gfx1201 opt=O3
	.text
	.amdgcn_target "amdgcn-amd-amdhsa--gfx1201"
	.amdhsa_code_object_version 6
	.protected	fft_rtc_fwd_len845_factors_13_5_13_wgs_195_tpt_65_halfLds_dp_op_CI_CI_sbrr_dirReg ; -- Begin function fft_rtc_fwd_len845_factors_13_5_13_wgs_195_tpt_65_halfLds_dp_op_CI_CI_sbrr_dirReg
	.globl	fft_rtc_fwd_len845_factors_13_5_13_wgs_195_tpt_65_halfLds_dp_op_CI_CI_sbrr_dirReg
	.p2align	8
	.type	fft_rtc_fwd_len845_factors_13_5_13_wgs_195_tpt_65_halfLds_dp_op_CI_CI_sbrr_dirReg,@function
fft_rtc_fwd_len845_factors_13_5_13_wgs_195_tpt_65_halfLds_dp_op_CI_CI_sbrr_dirReg: ; @fft_rtc_fwd_len845_factors_13_5_13_wgs_195_tpt_65_halfLds_dp_op_CI_CI_sbrr_dirReg
; %bb.0:
	s_clause 0x1
	s_load_b128 s[12:15], s[0:1], 0x18
	s_load_b128 s[8:11], s[0:1], 0x0
	v_mul_u32_u24_e32 v1, 0x3f1, v0
	v_mov_b32_e32 v4, 0
	s_load_b128 s[4:7], s[0:1], 0x58
	s_wait_kmcnt 0x0
	s_load_b64 s[18:19], s[12:13], 0x0
	s_load_b64 s[16:17], s[14:15], 0x0
	v_lshrrev_b32_e32 v2, 16, v1
	v_mov_b32_e32 v1, 0
	v_cmp_lt_u64_e64 s2, s[10:11], 2
	s_delay_alu instid0(VALU_DEP_3) | instskip(NEXT) | instid1(VALU_DEP_3)
	v_mad_co_u64_u32 v[52:53], null, ttmp9, 3, v[2:3]
	v_mov_b32_e32 v53, v1
	v_mov_b32_e32 v5, 0
	s_delay_alu instid0(VALU_DEP_4) | instskip(NEXT) | instid1(VALU_DEP_2)
	s_and_b32 vcc_lo, exec_lo, s2
	v_dual_mov_b32 v79, v53 :: v_dual_mov_b32 v78, v52
	s_delay_alu instid0(VALU_DEP_2)
	v_dual_mov_b32 v77, v5 :: v_dual_mov_b32 v76, v4
	s_cbranch_vccnz .LBB0_8
; %bb.1:
	s_load_b64 s[2:3], s[0:1], 0x10
	v_mov_b32_e32 v4, 0
	v_dual_mov_b32 v5, 0 :: v_dual_mov_b32 v6, v52
	v_mov_b32_e32 v7, v53
	s_add_nc_u64 s[20:21], s[14:15], 8
	s_add_nc_u64 s[22:23], s[12:13], 8
	s_delay_alu instid0(VALU_DEP_2)
	v_dual_mov_b32 v77, v5 :: v_dual_mov_b32 v76, v4
	s_mov_b64 s[24:25], 1
	s_wait_kmcnt 0x0
	s_add_nc_u64 s[26:27], s[2:3], 8
	s_mov_b32 s3, 0
.LBB0_2:                                ; =>This Inner Loop Header: Depth=1
	s_load_b64 s[28:29], s[26:27], 0x0
                                        ; implicit-def: $vgpr78_vgpr79
	s_mov_b32 s2, exec_lo
	s_wait_kmcnt 0x0
	v_or_b32_e32 v2, s29, v7
	s_delay_alu instid0(VALU_DEP_1)
	v_cmpx_ne_u64_e32 0, v[1:2]
	s_wait_alu 0xfffe
	s_xor_b32 s30, exec_lo, s2
	s_cbranch_execz .LBB0_4
; %bb.3:                                ;   in Loop: Header=BB0_2 Depth=1
	s_cvt_f32_u32 s2, s28
	s_cvt_f32_u32 s31, s29
	s_sub_nc_u64 s[36:37], 0, s[28:29]
	s_wait_alu 0xfffe
	s_delay_alu instid0(SALU_CYCLE_1) | instskip(SKIP_1) | instid1(SALU_CYCLE_2)
	s_fmamk_f32 s2, s31, 0x4f800000, s2
	s_wait_alu 0xfffe
	v_s_rcp_f32 s2, s2
	s_delay_alu instid0(TRANS32_DEP_1) | instskip(SKIP_1) | instid1(SALU_CYCLE_2)
	s_mul_f32 s2, s2, 0x5f7ffffc
	s_wait_alu 0xfffe
	s_mul_f32 s31, s2, 0x2f800000
	s_wait_alu 0xfffe
	s_delay_alu instid0(SALU_CYCLE_2) | instskip(SKIP_1) | instid1(SALU_CYCLE_2)
	s_trunc_f32 s31, s31
	s_wait_alu 0xfffe
	s_fmamk_f32 s2, s31, 0xcf800000, s2
	s_cvt_u32_f32 s35, s31
	s_wait_alu 0xfffe
	s_delay_alu instid0(SALU_CYCLE_1) | instskip(SKIP_1) | instid1(SALU_CYCLE_2)
	s_cvt_u32_f32 s34, s2
	s_wait_alu 0xfffe
	s_mul_u64 s[38:39], s[36:37], s[34:35]
	s_wait_alu 0xfffe
	s_mul_hi_u32 s41, s34, s39
	s_mul_i32 s40, s34, s39
	s_mul_hi_u32 s2, s34, s38
	s_mul_i32 s33, s35, s38
	s_wait_alu 0xfffe
	s_add_nc_u64 s[40:41], s[2:3], s[40:41]
	s_mul_hi_u32 s31, s35, s38
	s_mul_hi_u32 s42, s35, s39
	s_add_co_u32 s2, s40, s33
	s_wait_alu 0xfffe
	s_add_co_ci_u32 s2, s41, s31
	s_mul_i32 s38, s35, s39
	s_add_co_ci_u32 s39, s42, 0
	s_wait_alu 0xfffe
	s_add_nc_u64 s[38:39], s[2:3], s[38:39]
	s_wait_alu 0xfffe
	v_add_co_u32 v2, s2, s34, s38
	s_delay_alu instid0(VALU_DEP_1) | instskip(SKIP_1) | instid1(VALU_DEP_1)
	s_cmp_lg_u32 s2, 0
	s_add_co_ci_u32 s35, s35, s39
	v_readfirstlane_b32 s34, v2
	s_wait_alu 0xfffe
	s_delay_alu instid0(VALU_DEP_1)
	s_mul_u64 s[36:37], s[36:37], s[34:35]
	s_wait_alu 0xfffe
	s_mul_hi_u32 s39, s34, s37
	s_mul_i32 s38, s34, s37
	s_mul_hi_u32 s2, s34, s36
	s_mul_i32 s33, s35, s36
	s_wait_alu 0xfffe
	s_add_nc_u64 s[38:39], s[2:3], s[38:39]
	s_mul_hi_u32 s31, s35, s36
	s_mul_hi_u32 s34, s35, s37
	s_wait_alu 0xfffe
	s_add_co_u32 s2, s38, s33
	s_add_co_ci_u32 s2, s39, s31
	s_mul_i32 s36, s35, s37
	s_add_co_ci_u32 s37, s34, 0
	s_wait_alu 0xfffe
	s_add_nc_u64 s[36:37], s[2:3], s[36:37]
	s_wait_alu 0xfffe
	v_add_co_u32 v8, s2, v2, s36
	s_delay_alu instid0(VALU_DEP_1) | instskip(SKIP_1) | instid1(VALU_DEP_1)
	s_cmp_lg_u32 s2, 0
	s_add_co_ci_u32 s2, s35, s37
	v_mul_hi_u32 v12, v6, v8
	s_wait_alu 0xfffe
	v_mad_co_u64_u32 v[2:3], null, v6, s2, 0
	v_mad_co_u64_u32 v[8:9], null, v7, v8, 0
	;; [unrolled: 1-line block ×3, first 2 shown]
	s_delay_alu instid0(VALU_DEP_3) | instskip(SKIP_1) | instid1(VALU_DEP_4)
	v_add_co_u32 v2, vcc_lo, v12, v2
	s_wait_alu 0xfffd
	v_add_co_ci_u32_e32 v3, vcc_lo, 0, v3, vcc_lo
	s_delay_alu instid0(VALU_DEP_2) | instskip(SKIP_1) | instid1(VALU_DEP_2)
	v_add_co_u32 v2, vcc_lo, v2, v8
	s_wait_alu 0xfffd
	v_add_co_ci_u32_e32 v2, vcc_lo, v3, v9, vcc_lo
	s_wait_alu 0xfffd
	v_add_co_ci_u32_e32 v3, vcc_lo, 0, v11, vcc_lo
	s_delay_alu instid0(VALU_DEP_2) | instskip(SKIP_1) | instid1(VALU_DEP_2)
	v_add_co_u32 v8, vcc_lo, v2, v10
	s_wait_alu 0xfffd
	v_add_co_ci_u32_e32 v9, vcc_lo, 0, v3, vcc_lo
	s_delay_alu instid0(VALU_DEP_2) | instskip(SKIP_1) | instid1(VALU_DEP_3)
	v_mul_lo_u32 v10, s29, v8
	v_mad_co_u64_u32 v[2:3], null, s28, v8, 0
	v_mul_lo_u32 v11, s28, v9
	s_delay_alu instid0(VALU_DEP_2) | instskip(NEXT) | instid1(VALU_DEP_2)
	v_sub_co_u32 v2, vcc_lo, v6, v2
	v_add3_u32 v3, v3, v11, v10
	s_delay_alu instid0(VALU_DEP_1) | instskip(SKIP_1) | instid1(VALU_DEP_1)
	v_sub_nc_u32_e32 v10, v7, v3
	s_wait_alu 0xfffd
	v_subrev_co_ci_u32_e64 v10, s2, s29, v10, vcc_lo
	v_add_co_u32 v11, s2, v8, 2
	s_wait_alu 0xf1ff
	v_add_co_ci_u32_e64 v12, s2, 0, v9, s2
	v_sub_co_u32 v13, s2, v2, s28
	v_sub_co_ci_u32_e32 v3, vcc_lo, v7, v3, vcc_lo
	s_wait_alu 0xf1ff
	v_subrev_co_ci_u32_e64 v10, s2, 0, v10, s2
	s_delay_alu instid0(VALU_DEP_3) | instskip(NEXT) | instid1(VALU_DEP_3)
	v_cmp_le_u32_e32 vcc_lo, s28, v13
	v_cmp_eq_u32_e64 s2, s29, v3
	s_wait_alu 0xfffd
	v_cndmask_b32_e64 v13, 0, -1, vcc_lo
	v_cmp_le_u32_e32 vcc_lo, s29, v10
	s_wait_alu 0xfffd
	v_cndmask_b32_e64 v14, 0, -1, vcc_lo
	v_cmp_le_u32_e32 vcc_lo, s28, v2
	;; [unrolled: 3-line block ×3, first 2 shown]
	s_wait_alu 0xfffd
	v_cndmask_b32_e64 v15, 0, -1, vcc_lo
	v_cmp_eq_u32_e32 vcc_lo, s29, v10
	s_wait_alu 0xf1ff
	s_delay_alu instid0(VALU_DEP_2)
	v_cndmask_b32_e64 v2, v15, v2, s2
	s_wait_alu 0xfffd
	v_cndmask_b32_e32 v10, v14, v13, vcc_lo
	v_add_co_u32 v13, vcc_lo, v8, 1
	s_wait_alu 0xfffd
	v_add_co_ci_u32_e32 v14, vcc_lo, 0, v9, vcc_lo
	s_delay_alu instid0(VALU_DEP_3) | instskip(SKIP_1) | instid1(VALU_DEP_2)
	v_cmp_ne_u32_e32 vcc_lo, 0, v10
	s_wait_alu 0xfffd
	v_dual_cndmask_b32 v3, v14, v12 :: v_dual_cndmask_b32 v10, v13, v11
	v_cmp_ne_u32_e32 vcc_lo, 0, v2
	s_wait_alu 0xfffd
	s_delay_alu instid0(VALU_DEP_2)
	v_dual_cndmask_b32 v79, v9, v3 :: v_dual_cndmask_b32 v78, v8, v10
.LBB0_4:                                ;   in Loop: Header=BB0_2 Depth=1
	s_wait_alu 0xfffe
	s_and_not1_saveexec_b32 s2, s30
	s_cbranch_execz .LBB0_6
; %bb.5:                                ;   in Loop: Header=BB0_2 Depth=1
	v_cvt_f32_u32_e32 v2, s28
	s_sub_co_i32 s30, 0, s28
	v_mov_b32_e32 v79, v1
	s_delay_alu instid0(VALU_DEP_2) | instskip(NEXT) | instid1(TRANS32_DEP_1)
	v_rcp_iflag_f32_e32 v2, v2
	v_mul_f32_e32 v2, 0x4f7ffffe, v2
	s_delay_alu instid0(VALU_DEP_1) | instskip(SKIP_1) | instid1(VALU_DEP_1)
	v_cvt_u32_f32_e32 v2, v2
	s_wait_alu 0xfffe
	v_mul_lo_u32 v3, s30, v2
	s_delay_alu instid0(VALU_DEP_1) | instskip(NEXT) | instid1(VALU_DEP_1)
	v_mul_hi_u32 v3, v2, v3
	v_add_nc_u32_e32 v2, v2, v3
	s_delay_alu instid0(VALU_DEP_1) | instskip(NEXT) | instid1(VALU_DEP_1)
	v_mul_hi_u32 v2, v6, v2
	v_mul_lo_u32 v3, v2, s28
	v_add_nc_u32_e32 v8, 1, v2
	s_delay_alu instid0(VALU_DEP_2) | instskip(NEXT) | instid1(VALU_DEP_1)
	v_sub_nc_u32_e32 v3, v6, v3
	v_subrev_nc_u32_e32 v9, s28, v3
	v_cmp_le_u32_e32 vcc_lo, s28, v3
	s_wait_alu 0xfffd
	s_delay_alu instid0(VALU_DEP_2) | instskip(NEXT) | instid1(VALU_DEP_1)
	v_dual_cndmask_b32 v3, v3, v9 :: v_dual_cndmask_b32 v2, v2, v8
	v_cmp_le_u32_e32 vcc_lo, s28, v3
	s_delay_alu instid0(VALU_DEP_2) | instskip(SKIP_1) | instid1(VALU_DEP_1)
	v_add_nc_u32_e32 v8, 1, v2
	s_wait_alu 0xfffd
	v_cndmask_b32_e32 v78, v2, v8, vcc_lo
.LBB0_6:                                ;   in Loop: Header=BB0_2 Depth=1
	s_wait_alu 0xfffe
	s_or_b32 exec_lo, exec_lo, s2
	v_mul_lo_u32 v8, v79, s28
	s_delay_alu instid0(VALU_DEP_2)
	v_mul_lo_u32 v9, v78, s29
	s_load_b64 s[30:31], s[22:23], 0x0
	v_mad_co_u64_u32 v[2:3], null, v78, s28, 0
	s_load_b64 s[28:29], s[20:21], 0x0
	s_add_nc_u64 s[24:25], s[24:25], 1
	s_add_nc_u64 s[20:21], s[20:21], 8
	s_wait_alu 0xfffe
	v_cmp_ge_u64_e64 s2, s[24:25], s[10:11]
	s_add_nc_u64 s[22:23], s[22:23], 8
	s_add_nc_u64 s[26:27], s[26:27], 8
	v_add3_u32 v3, v3, v9, v8
	v_sub_co_u32 v2, vcc_lo, v6, v2
	s_wait_alu 0xfffd
	s_delay_alu instid0(VALU_DEP_2) | instskip(SKIP_2) | instid1(VALU_DEP_1)
	v_sub_co_ci_u32_e32 v3, vcc_lo, v7, v3, vcc_lo
	s_and_b32 vcc_lo, exec_lo, s2
	s_wait_kmcnt 0x0
	v_mul_lo_u32 v6, s30, v3
	v_mul_lo_u32 v7, s31, v2
	v_mad_co_u64_u32 v[4:5], null, s30, v2, v[4:5]
	v_mul_lo_u32 v3, s28, v3
	v_mul_lo_u32 v8, s29, v2
	v_mad_co_u64_u32 v[76:77], null, s28, v2, v[76:77]
	s_delay_alu instid0(VALU_DEP_4) | instskip(NEXT) | instid1(VALU_DEP_2)
	v_add3_u32 v5, v7, v5, v6
	v_add3_u32 v77, v8, v77, v3
	s_wait_alu 0xfffe
	s_cbranch_vccnz .LBB0_8
; %bb.7:                                ;   in Loop: Header=BB0_2 Depth=1
	v_dual_mov_b32 v6, v78 :: v_dual_mov_b32 v7, v79
	s_branch .LBB0_2
.LBB0_8:
	s_load_b64 s[0:1], s[0:1], 0x28
	v_mul_hi_u32 v1, 0x3f03f04, v0
	s_lshl_b64 s[10:11], s[10:11], 3
                                        ; implicit-def: $sgpr2
                                        ; implicit-def: $vgpr90
                                        ; implicit-def: $vgpr94
                                        ; implicit-def: $vgpr93
	s_wait_kmcnt 0x0
	v_cmp_gt_u64_e32 vcc_lo, s[0:1], v[78:79]
	v_cmp_le_u64_e64 s0, s[0:1], v[78:79]
	s_delay_alu instid0(VALU_DEP_1)
	s_and_saveexec_b32 s1, s0
	s_wait_alu 0xfffe
	s_xor_b32 s0, exec_lo, s1
; %bb.9:
	v_mul_u32_u24_e32 v1, 0x41, v1
	s_mov_b32 s2, 0
                                        ; implicit-def: $vgpr4_vgpr5
	s_delay_alu instid0(VALU_DEP_1) | instskip(NEXT) | instid1(VALU_DEP_1)
	v_sub_nc_u32_e32 v90, v0, v1
                                        ; implicit-def: $vgpr1
                                        ; implicit-def: $vgpr0
	v_add_nc_u32_e32 v94, 0x41, v90
	v_add_nc_u32_e32 v93, 0x82, v90
; %bb.10:
	s_wait_alu 0xfffe
	s_or_saveexec_b32 s1, s0
	v_mov_b32_e32 v88, s2
	s_add_nc_u64 s[2:3], s[14:15], s[10:11]
                                        ; implicit-def: $vgpr6_vgpr7
                                        ; implicit-def: $vgpr10_vgpr11
                                        ; implicit-def: $vgpr14_vgpr15
                                        ; implicit-def: $vgpr30_vgpr31
                                        ; implicit-def: $vgpr50_vgpr51
                                        ; implicit-def: $vgpr26_vgpr27
                                        ; implicit-def: $vgpr22_vgpr23
                                        ; implicit-def: $vgpr18_vgpr19
                                        ; implicit-def: $vgpr34_vgpr35
                                        ; implicit-def: $vgpr42_vgpr43
                                        ; implicit-def: $vgpr46_vgpr47
                                        ; implicit-def: $vgpr38_vgpr39
                                        ; implicit-def: $vgpr2_vgpr3
	s_wait_alu 0xfffe
	s_xor_b32 exec_lo, exec_lo, s1
	s_cbranch_execz .LBB0_12
; %bb.11:
	s_add_nc_u64 s[10:11], s[12:13], s[10:11]
	v_mul_u32_u24_e32 v1, 0x41, v1
	s_load_b64 s[10:11], s[10:11], 0x0
	v_lshlrev_b64_e32 v[4:5], 4, v[4:5]
	s_delay_alu instid0(VALU_DEP_2) | instskip(NEXT) | instid1(VALU_DEP_1)
	v_sub_nc_u32_e32 v90, v0, v1
	v_add_nc_u32_e32 v94, 0x41, v90
	v_mad_co_u64_u32 v[0:1], null, s18, v90, 0
	v_add_nc_u32_e32 v93, 0x82, v90
	v_add_nc_u32_e32 v15, 0xc3, v90
	s_delay_alu instid0(VALU_DEP_4) | instskip(SKIP_1) | instid1(VALU_DEP_4)
	v_mad_co_u64_u32 v[2:3], null, s18, v94, 0
	v_add_nc_u32_e32 v17, 0x104, v90
	v_mad_co_u64_u32 v[6:7], null, s18, v93, 0
	s_delay_alu instid0(VALU_DEP_4)
	v_mad_co_u64_u32 v[10:11], null, s18, v15, 0
	s_wait_kmcnt 0x0
	v_mul_lo_u32 v14, s11, v78
	v_mul_lo_u32 v16, s10, v79
	v_mad_co_u64_u32 v[8:9], null, s10, v78, 0
	v_mad_co_u64_u32 v[12:13], null, s19, v90, v[1:2]
	v_add_nc_u32_e32 v53, 0x2cb, v90
	v_add_nc_u32_e32 v18, 0x186, v90
	;; [unrolled: 1-line block ×3, first 2 shown]
	v_mov_b32_e32 v88, v90
	v_add3_u32 v9, v9, v16, v14
	v_dual_mov_b32 v1, v12 :: v_dual_add_nc_u32 v16, 0x145, v90
	v_mad_co_u64_u32 v[12:13], null, s19, v94, v[3:4]
	s_delay_alu instid0(VALU_DEP_3) | instskip(SKIP_1) | instid1(VALU_DEP_4)
	v_lshlrev_b64_e32 v[8:9], 4, v[8:9]
	v_mad_co_u64_u32 v[28:29], null, s18, v53, 0
	v_lshlrev_b64_e32 v[0:1], 4, v[0:1]
	v_mad_co_u64_u32 v[48:49], null, s18, v54, 0
	s_delay_alu instid0(VALU_DEP_4) | instskip(SKIP_4) | instid1(VALU_DEP_3)
	v_mad_co_u64_u32 v[13:14], null, s19, v93, v[7:8]
	v_add_co_u32 v7, s0, s4, v8
	s_wait_alu 0xf1ff
	v_add_co_ci_u32_e64 v8, s0, s5, v9, s0
	v_mov_b32_e32 v3, v12
	v_add_co_u32 v50, s0, v7, v4
	s_wait_alu 0xf1ff
	s_delay_alu instid0(VALU_DEP_3) | instskip(NEXT) | instid1(VALU_DEP_3)
	v_add_co_ci_u32_e64 v51, s0, v8, v5, s0
	v_lshlrev_b64_e32 v[2:3], 4, v[2:3]
	s_delay_alu instid0(VALU_DEP_3) | instskip(SKIP_3) | instid1(VALU_DEP_4)
	v_add_co_u32 v0, s0, v50, v0
	v_mad_co_u64_u32 v[8:9], null, s19, v15, v[11:12]
	s_wait_alu 0xf1ff
	v_add_co_ci_u32_e64 v1, s0, v51, v1, s0
	v_add_co_u32 v4, s0, v50, v2
	v_mad_co_u64_u32 v[14:15], null, s18, v17, 0
	v_mov_b32_e32 v7, v13
	s_wait_alu 0xf1ff
	v_add_co_ci_u32_e64 v5, s0, v51, v3, s0
	s_clause 0x1
	global_load_b128 v[0:3], v[0:1], off
	global_load_b128 v[36:39], v[4:5], off
	v_lshlrev_b64_e32 v[4:5], 4, v[6:7]
	v_mov_b32_e32 v11, v8
	v_mad_co_u64_u32 v[7:8], null, s18, v16, 0
	v_mov_b32_e32 v6, v15
	s_delay_alu instid0(VALU_DEP_3)
	v_lshlrev_b64_e32 v[9:10], 4, v[10:11]
	v_add_co_u32 v4, s0, v50, v4
	s_wait_alu 0xf1ff
	v_add_co_ci_u32_e64 v5, s0, v51, v5, s0
	v_mad_co_u64_u32 v[11:12], null, s19, v17, v[6:7]
	v_mov_b32_e32 v6, v8
	v_add_co_u32 v8, s0, v50, v9
	v_mad_co_u64_u32 v[12:13], null, s18, v18, 0
	s_wait_alu 0xf1ff
	v_add_co_ci_u32_e64 v9, s0, v51, v10, s0
	v_mov_b32_e32 v15, v11
	v_mad_co_u64_u32 v[10:11], null, s19, v16, v[6:7]
	s_delay_alu instid0(VALU_DEP_4)
	v_dual_mov_b32 v6, v13 :: v_dual_add_nc_u32 v17, 0x1c7, v90
	s_clause 0x1
	global_load_b128 v[44:47], v[4:5], off
	global_load_b128 v[40:43], v[8:9], off
	v_lshlrev_b64_e32 v[4:5], 4, v[14:15]
	v_mad_co_u64_u32 v[20:21], null, s18, v17, 0
	v_mov_b32_e32 v8, v10
	v_mad_co_u64_u32 v[13:14], null, s19, v18, v[6:7]
	v_add_nc_u32_e32 v14, 0x208, v90
	v_add_co_u32 v4, s0, v50, v4
	v_mov_b32_e32 v6, v21
	v_lshlrev_b64_e32 v[7:8], 4, v[7:8]
	s_wait_alu 0xf1ff
	v_add_co_ci_u32_e64 v5, s0, v51, v5, s0
	s_delay_alu instid0(VALU_DEP_2)
	v_mad_co_u64_u32 v[9:10], null, s19, v17, v[6:7]
	v_lshlrev_b64_e32 v[10:11], 4, v[12:13]
	v_mad_co_u64_u32 v[12:13], null, s18, v14, 0
	v_add_co_u32 v6, s0, v50, v7
	s_wait_alu 0xf1ff
	v_add_co_ci_u32_e64 v7, s0, v51, v8, s0
	v_mov_b32_e32 v21, v9
	s_clause 0x1
	global_load_b128 v[32:35], v[4:5], off
	global_load_b128 v[16:19], v[6:7], off
	v_mov_b32_e32 v6, v13
	v_add_co_u32 v4, s0, v50, v10
	v_lshlrev_b64_e32 v[7:8], 4, v[20:21]
	s_wait_alu 0xf1ff
	v_add_co_ci_u32_e64 v5, s0, v51, v11, s0
	s_delay_alu instid0(VALU_DEP_2) | instskip(SKIP_4) | instid1(VALU_DEP_4)
	v_mad_co_u64_u32 v[9:10], null, s19, v14, v[6:7]
	v_add_nc_u32_e32 v20, 0x249, v90
	v_add_co_u32 v6, s0, v50, v7
	s_wait_alu 0xf1ff
	v_add_co_ci_u32_e64 v7, s0, v51, v8, s0
	v_mov_b32_e32 v13, v9
	v_mad_co_u64_u32 v[10:11], null, s18, v20, 0
	s_delay_alu instid0(VALU_DEP_1) | instskip(NEXT) | instid1(VALU_DEP_1)
	v_dual_mov_b32 v8, v11 :: v_dual_add_nc_u32 v21, 0x28a, v90
	v_mad_co_u64_u32 v[14:15], null, s18, v21, 0
	s_delay_alu instid0(VALU_DEP_1) | instskip(NEXT) | instid1(VALU_DEP_1)
	v_mov_b32_e32 v9, v15
	v_mad_co_u64_u32 v[30:31], null, s19, v20, v[8:9]
	v_mad_co_u64_u32 v[8:9], null, s19, v21, v[9:10]
	s_clause 0x1
	global_load_b128 v[20:23], v[4:5], off
	global_load_b128 v[24:27], v[6:7], off
	v_lshlrev_b64_e32 v[5:6], 4, v[12:13]
	v_dual_mov_b32 v4, v29 :: v_dual_mov_b32 v11, v30
	v_mov_b32_e32 v15, v8
	s_delay_alu instid0(VALU_DEP_2)
	v_mad_co_u64_u32 v[7:8], null, s19, v53, v[4:5]
	v_mov_b32_e32 v4, v49
	v_add_co_u32 v5, s0, v50, v5
	v_lshlrev_b64_e32 v[8:9], 4, v[10:11]
	s_wait_alu 0xf1ff
	v_add_co_ci_u32_e64 v6, s0, v51, v6, s0
	s_delay_alu instid0(VALU_DEP_3)
	v_mad_co_u64_u32 v[10:11], null, s19, v54, v[4:5]
	v_lshlrev_b64_e32 v[11:12], 4, v[14:15]
	v_mov_b32_e32 v29, v7
	v_add_co_u32 v7, s0, v50, v8
	s_wait_alu 0xf1ff
	v_add_co_ci_u32_e64 v8, s0, v51, v9, s0
	v_mov_b32_e32 v49, v10
	v_lshlrev_b64_e32 v[13:14], 4, v[28:29]
	v_add_co_u32 v9, s0, v50, v11
	s_wait_alu 0xf1ff
	v_add_co_ci_u32_e64 v10, s0, v51, v12, s0
	v_lshlrev_b64_e32 v[11:12], 4, v[48:49]
	s_delay_alu instid0(VALU_DEP_4) | instskip(SKIP_2) | instid1(VALU_DEP_3)
	v_add_co_u32 v53, s0, v50, v13
	s_wait_alu 0xf1ff
	v_add_co_ci_u32_e64 v54, s0, v51, v14, s0
	v_add_co_u32 v55, s0, v50, v11
	s_wait_alu 0xf1ff
	v_add_co_ci_u32_e64 v56, s0, v51, v12, s0
	s_clause 0x4
	global_load_b128 v[48:51], v[5:6], off
	global_load_b128 v[28:31], v[7:8], off
	;; [unrolled: 1-line block ×5, first 2 shown]
.LBB0_12:
	s_or_b32 exec_lo, exec_lo, s1
	s_wait_loadcnt 0xb
	v_add_f64_e32 v[53:54], v[36:37], v[0:1]
	s_wait_loadcnt 0x0
	v_add_f64_e32 v[55:56], v[4:5], v[36:37]
	s_mov_b32 s14, 0xe00740e9
	s_mov_b32 s10, 0x1ea71119
	;; [unrolled: 1-line block ×10, first 2 shown]
	v_add_f64_e64 v[57:58], v[38:39], -v[6:7]
	v_add_f64_e32 v[59:60], v[8:9], v[44:45]
	s_mov_b32 s4, 0xebaa3ed8
	s_mov_b32 s5, 0x3fbedb7d
	;; [unrolled: 1-line block ×19, first 2 shown]
	s_wait_alu 0xfffe
	s_mov_b32 s34, s38
	s_mov_b32 s22, 0x66966769
	v_add_f64_e32 v[71:72], v[12:13], v[40:41]
	v_add_f64_e64 v[73:74], v[46:47], -v[10:11]
	s_mov_b32 s47, 0xbfddbe06
	v_add_f64_e32 v[53:54], v[44:45], v[53:54]
	v_mul_f64_e32 v[61:62], s[14:15], v[55:56]
	v_mul_f64_e32 v[63:64], s[10:11], v[55:56]
	;; [unrolled: 1-line block ×6, first 2 shown]
	s_mov_b32 s23, 0x3fefc445
	s_mov_b32 s41, 0xbfefc445
	;; [unrolled: 1-line block ×4, first 2 shown]
	v_add_f64_e32 v[107:108], v[28:29], v[32:33]
	s_load_b64 s[2:3], s[2:3], 0x0
	v_mul_f64_e32 v[80:81], s[10:11], v[59:60]
	v_mul_f64_e32 v[82:83], s[12:13], v[59:60]
	;; [unrolled: 1-line block ×6, first 2 shown]
	v_cmp_gt_u32_e64 s0, 39, v90
	v_mul_f64_e32 v[109:110], s[4:5], v[71:72]
	v_mul_f64_e32 v[111:112], s[20:21], v[71:72]
	;; [unrolled: 1-line block ×3, first 2 shown]
	v_add_f64_e32 v[53:54], v[40:41], v[53:54]
	v_fma_f64 v[95:96], v[57:58], s[28:29], v[61:62]
	v_fma_f64 v[97:98], v[57:58], s[36:37], v[63:64]
	;; [unrolled: 1-line block ×12, first 2 shown]
	v_add_f64_e64 v[57:58], v[42:43], -v[14:15]
	v_mul_f64_e32 v[115:116], s[14:15], v[71:72]
	v_mul_f64_e32 v[117:118], s[10:11], v[71:72]
	;; [unrolled: 1-line block ×3, first 2 shown]
	v_fma_f64 v[119:120], v[73:74], s[26:27], v[80:81]
	v_fma_f64 v[80:81], v[73:74], s[36:37], v[80:81]
	;; [unrolled: 1-line block ×12, first 2 shown]
	v_mul_f64_e32 v[131:132], s[12:13], v[107:108]
	v_mul_f64_e32 v[133:134], s[18:19], v[107:108]
	;; [unrolled: 1-line block ×6, first 2 shown]
	v_add_f64_e32 v[53:54], v[32:33], v[53:54]
	v_add_f64_e32 v[73:74], v[0:1], v[95:96]
	;; [unrolled: 1-line block ×13, first 2 shown]
	v_add_f64_e64 v[55:56], v[34:35], -v[30:31]
	v_add_f64_e32 v[105:106], v[48:49], v[16:17]
	v_fma_f64 v[141:142], v[57:58], s[22:23], v[109:110]
	v_fma_f64 v[109:110], v[57:58], s[40:41], v[109:110]
	;; [unrolled: 1-line block ×12, first 2 shown]
	v_add_f64_e32 v[53:54], v[16:17], v[53:54]
	v_add_f64_e32 v[71:72], v[119:120], v[73:74]
	;; [unrolled: 1-line block ×13, first 2 shown]
	v_add_f64_e64 v[80:81], v[18:19], -v[50:51]
	v_add_f64_e32 v[84:85], v[24:25], v[20:21]
	v_mul_f64_e32 v[95:96], s[18:19], v[105:106]
	v_mul_f64_e32 v[97:98], s[4:5], v[105:106]
	;; [unrolled: 1-line block ×4, first 2 shown]
	v_fma_f64 v[119:120], v[55:56], s[44:45], v[131:132]
	v_fma_f64 v[123:124], v[55:56], s[22:23], v[137:138]
	;; [unrolled: 1-line block ×5, first 2 shown]
	v_mul_f64_e32 v[99:100], s[10:11], v[105:106]
	v_mul_f64_e32 v[105:106], s[12:13], v[105:106]
	v_fma_f64 v[121:122], v[55:56], s[24:25], v[131:132]
	v_fma_f64 v[131:132], v[55:56], s[36:37], v[107:108]
	;; [unrolled: 1-line block ×7, first 2 shown]
	v_add_f64_e32 v[53:54], v[20:21], v[53:54]
	v_add_f64_e32 v[71:72], v[141:142], v[71:72]
	;; [unrolled: 1-line block ×13, first 2 shown]
	v_add_f64_e64 v[69:70], v[22:23], -v[26:27]
	v_mul_f64_e32 v[109:110], s[20:21], v[84:85]
	v_mul_f64_e32 v[111:112], s[14:15], v[84:85]
	v_mul_f64_e32 v[113:114], s[18:19], v[84:85]
	v_mul_f64_e32 v[115:116], s[10:11], v[84:85]
	v_mul_f64_e32 v[117:118], s[12:13], v[84:85]
	v_mul_f64_e32 v[84:85], s[4:5], v[84:85]
	v_fma_f64 v[135:136], v[80:81], s[42:43], v[95:96]
	v_fma_f64 v[141:142], v[80:81], s[34:35], v[101:102]
	;; [unrolled: 1-line block ×12, first 2 shown]
	v_add_f64_e32 v[53:54], v[24:25], v[53:54]
	v_add_f64_e32 v[71:72], v[119:120], v[71:72]
	v_add_f64_e32 v[73:74], v[137:138], v[73:74]
	v_add_f64_e32 v[82:83], v[123:124], v[82:83]
	v_add_f64_e32 v[65:66], v[125:126], v[65:66]
	v_add_f64_e32 v[86:87], v[127:128], v[86:87]
	v_add_f64_e32 v[67:68], v[129:130], v[67:68]
	v_add_f64_e32 v[91:92], v[131:132], v[91:92]
	v_add_f64_e32 v[57:58], v[107:108], v[57:58]
	v_add_f64_e32 v[59:60], v[121:122], v[59:60]
	v_add_f64_e32 v[55:56], v[55:56], v[61:62]
	v_add_f64_e32 v[61:62], v[133:134], v[63:64]
	v_add_f64_e32 v[0:1], v[139:140], v[0:1]
	v_fma_f64 v[63:64], v[69:70], s[38:39], v[109:110]
	v_fma_f64 v[99:100], v[69:70], s[34:35], v[109:110]
	;; [unrolled: 1-line block ×12, first 2 shown]
	v_add_f64_e32 v[53:54], v[48:49], v[53:54]
	v_add_f64_e32 v[71:72], v[135:136], v[71:72]
	;; [unrolled: 1-line block ×25, first 2 shown]
	s_delay_alu instid0(VALU_DEP_1) | instskip(SKIP_3) | instid1(VALU_DEP_3)
	v_add_f64_e32 v[95:96], v[8:9], v[53:54]
	v_mul_hi_u32 v53, 0xaaaaaaab, v52
	v_add_f64_e32 v[54:55], v[99:100], v[59:60]
	v_add_f64_e32 v[58:59], v[111:112], v[61:62]
	v_lshrrev_b32_e32 v53, 1, v53
	s_delay_alu instid0(VALU_DEP_1) | instskip(NEXT) | instid1(VALU_DEP_1)
	v_lshl_add_u32 v53, v53, 1, v53
	v_sub_nc_u32_e32 v52, v52, v53
	s_delay_alu instid0(VALU_DEP_1) | instskip(NEXT) | instid1(VALU_DEP_1)
	v_mul_u32_u24_e32 v52, 0x34d, v52
	v_lshl_add_u32 v53, v52, 3, 0
	s_delay_alu instid0(VALU_DEP_1) | instskip(SKIP_3) | instid1(VALU_DEP_4)
	v_mad_u32_u24 v97, 0x68, v90, v53
	v_lshl_add_u32 v89, v90, 3, v53
	v_lshl_add_u32 v91, v94, 3, v53
	v_add_f64_e32 v[60:61], v[4:5], v[95:96]
	v_mad_i32_i24 v92, 0xffffffa0, v90, v97
	v_lshlrev_b32_e32 v96, 3, v93
	v_lshlrev_b32_e32 v95, 3, v52
	ds_store_2addr_b64 v97, v[71:72], v[73:74] offset0:4 offset1:5
	ds_store_2addr_b64 v97, v[86:87], v[56:57] offset0:6 offset1:7
	;; [unrolled: 1-line block ×4, first 2 shown]
	ds_store_b64 v97, v[54:55] offset:96
	ds_store_2addr_b64 v97, v[60:61], v[63:64] offset1:1
	ds_store_2addr_b64 v97, v[58:59], v[0:1] offset0:2 offset1:3
	v_add_nc_u32_e32 v98, 0x800, v92
	v_add_nc_u32_e32 v99, 0xc00, v92
	;; [unrolled: 1-line block ×3, first 2 shown]
	global_wb scope:SCOPE_SE
	s_wait_dscnt 0x0
	s_wait_kmcnt 0x0
	s_barrier_signal -1
	s_barrier_wait -1
	global_inv scope:SCOPE_SE
	ds_load_2addr_b64 v[60:63], v92 offset0:169 offset1:234
	ds_load_2addr_b64 v[64:67], v98 offset0:82 offset1:147
	;; [unrolled: 1-line block ×4, first 2 shown]
	ds_load_b64 v[86:87], v89
	ds_load_b64 v[84:85], v91
                                        ; implicit-def: $vgpr58_vgpr59
	s_and_saveexec_b32 s1, s0
	s_cbranch_execz .LBB0_14
; %bb.13:
	ds_load_2addr_b64 v[52:55], v98 offset0:43 offset1:212
	v_add3_u32 v0, 0, v96, v95
	v_add_nc_u32_e32 v1, 0x1200, v92
	s_wait_dscnt 0x0
	v_dual_mov_b32 v83, v53 :: v_dual_mov_b32 v82, v52
	ds_load_b64 v[80:81], v0
	ds_load_2addr_b64 v[56:59], v1 offset0:61 offset1:230
.LBB0_14:
	s_wait_alu 0xfffe
	s_or_b32 exec_lo, exec_lo, s1
	v_add_f64_e32 v[0:1], v[38:39], v[2:3]
	v_add_f64_e64 v[4:5], v[36:37], -v[4:5]
	v_add_f64_e64 v[8:9], v[44:45], -v[8:9]
	v_add_f64_e32 v[36:37], v[6:7], v[38:39]
	v_add_f64_e64 v[12:13], v[40:41], -v[12:13]
	v_add_f64_e32 v[40:41], v[10:11], v[46:47]
	v_add_f64_e64 v[28:29], v[32:33], -v[28:29]
	v_add_f64_e64 v[16:17], v[16:17], -v[48:49]
	;; [unrolled: 1-line block ×3, first 2 shown]
	global_wb scope:SCOPE_SE
	s_wait_dscnt 0x0
	s_barrier_signal -1
	s_barrier_wait -1
	global_inv scope:SCOPE_SE
	v_add_f64_e32 v[0:1], v[46:47], v[0:1]
	v_mul_f64_e32 v[38:39], s[46:47], v[4:5]
	v_mul_f64_e32 v[44:45], s[36:37], v[4:5]
	;; [unrolled: 1-line block ×20, first 2 shown]
	v_add_f64_e32 v[0:1], v[42:43], v[0:1]
	v_fma_f64 v[113:114], v[36:37], s[14:15], v[38:39]
	v_fma_f64 v[38:39], v[36:37], s[14:15], -v[38:39]
	v_fma_f64 v[115:116], v[36:37], s[10:11], -v[44:45]
	v_fma_f64 v[117:118], v[36:37], s[12:13], v[52:53]
	v_fma_f64 v[119:120], v[36:37], s[18:19], v[101:102]
	v_fma_f64 v[52:53], v[36:37], s[12:13], -v[52:53]
	v_fma_f64 v[121:122], v[36:37], s[20:21], v[103:104]
	v_fma_f64 v[103:104], v[36:37], s[20:21], -v[103:104]
	v_fma_f64 v[101:102], v[36:37], s[18:19], -v[101:102]
	;; [unrolled: 1-line block ×3, first 2 shown]
	v_fma_f64 v[44:45], v[36:37], s[10:11], v[44:45]
	v_fma_f64 v[4:5], v[36:37], s[4:5], v[4:5]
	v_add_f64_e32 v[36:37], v[14:15], v[42:43]
	v_mul_f64_e32 v[42:43], s[34:35], v[12:13]
	v_mul_f64_e32 v[12:13], s[30:31], v[12:13]
	v_fma_f64 v[131:132], v[40:41], s[10:11], v[46:47]
	v_fma_f64 v[46:47], v[40:41], s[10:11], -v[46:47]
	v_fma_f64 v[133:134], v[40:41], s[12:13], v[105:106]
	v_fma_f64 v[105:106], v[40:41], s[12:13], -v[105:106]
	v_fma_f64 v[135:136], v[40:41], s[20:21], v[107:108]
	v_fma_f64 v[107:108], v[40:41], s[20:21], -v[107:108]
	v_fma_f64 v[137:138], v[40:41], s[18:19], v[109:110]
	v_fma_f64 v[109:110], v[40:41], s[18:19], -v[109:110]
	v_fma_f64 v[139:140], v[40:41], s[4:5], v[111:112]
	v_fma_f64 v[111:112], v[40:41], s[4:5], -v[111:112]
	v_fma_f64 v[141:142], v[40:41], s[14:15], v[8:9]
	v_fma_f64 v[8:9], v[40:41], s[14:15], -v[8:9]
	v_add_f64_e32 v[0:1], v[34:35], v[0:1]
	v_add_f64_e32 v[40:41], v[2:3], v[113:114]
	v_add_f64_e32 v[38:39], v[2:3], v[38:39]
	v_add_f64_e32 v[113:114], v[2:3], v[115:116]
	v_add_f64_e32 v[115:116], v[2:3], v[117:118]
	v_add_f64_e32 v[117:118], v[2:3], v[119:120]
	v_add_f64_e32 v[52:53], v[2:3], v[52:53]
	v_add_f64_e32 v[119:120], v[2:3], v[121:122]
	v_add_f64_e32 v[103:104], v[2:3], v[103:104]
	v_add_f64_e32 v[101:102], v[2:3], v[101:102]
	v_add_f64_e32 v[121:122], v[2:3], v[123:124]
	v_add_f64_e32 v[44:45], v[2:3], v[44:45]
	v_add_f64_e32 v[2:3], v[2:3], v[4:5]
	v_add_f64_e32 v[4:5], v[30:31], v[34:35]
	v_mul_f64_e32 v[34:35], s[24:25], v[28:29]
	v_mul_f64_e32 v[123:124], s[28:29], v[28:29]
	v_mul_f64_e32 v[28:29], s[26:27], v[28:29]
	v_fma_f64 v[147:148], v[36:37], s[4:5], v[32:33]
	v_fma_f64 v[32:33], v[36:37], s[4:5], -v[32:33]
	v_fma_f64 v[149:150], v[36:37], s[20:21], v[42:43]
	v_fma_f64 v[42:43], v[36:37], s[20:21], -v[42:43]
	v_fma_f64 v[151:152], v[36:37], s[12:13], v[125:126]
	v_fma_f64 v[125:126], v[36:37], s[12:13], -v[125:126]
	v_fma_f64 v[153:154], v[36:37], s[14:15], v[127:128]
	v_fma_f64 v[127:128], v[36:37], s[14:15], -v[127:128]
	v_fma_f64 v[155:156], v[36:37], s[10:11], v[129:130]
	v_fma_f64 v[129:130], v[36:37], s[10:11], -v[129:130]
	v_fma_f64 v[157:158], v[36:37], s[18:19], v[12:13]
	v_fma_f64 v[12:13], v[36:37], s[18:19], -v[12:13]
	v_add_f64_e32 v[0:1], v[18:19], v[0:1]
	v_add_f64_e32 v[36:37], v[131:132], v[40:41]
	v_add_f64_e32 v[38:39], v[46:47], v[38:39]
	v_add_f64_e32 v[40:41], v[105:106], v[113:114]
	v_add_f64_e32 v[46:47], v[137:138], v[115:116]
	v_add_f64_e32 v[105:106], v[139:140], v[117:118]
	v_add_f64_e32 v[52:53], v[109:110], v[52:53]
	v_add_f64_e32 v[109:110], v[141:142], v[119:120]
	v_add_f64_e32 v[8:9], v[8:9], v[103:104]
	v_add_f64_e32 v[101:102], v[111:112], v[101:102]
	v_add_f64_e32 v[103:104], v[107:108], v[121:122]
	v_add_f64_e32 v[44:45], v[133:134], v[44:45]
	v_add_f64_e32 v[2:3], v[135:136], v[2:3]
	v_add_f64_e32 v[18:19], v[50:51], v[18:19]
	v_mul_f64_e32 v[107:108], s[36:37], v[16:17]
	;; [unrolled: 29-line block ×3, first 2 shown]
	v_mul_f64_e32 v[103:104], s[26:27], v[20:21]
	v_mul_f64_e32 v[105:106], s[24:25], v[20:21]
	v_fma_f64 v[109:110], v[18:19], s[18:19], v[24:25]
	v_fma_f64 v[24:25], v[18:19], s[18:19], -v[24:25]
	v_fma_f64 v[127:128], v[18:19], s[10:11], v[107:108]
	v_fma_f64 v[107:108], v[18:19], s[10:11], -v[107:108]
	v_fma_f64 v[129:130], v[18:19], s[20:21], v[111:112]
	v_fma_f64 v[111:112], v[18:19], s[20:21], -v[111:112]
	v_fma_f64 v[139:140], v[18:19], s[14:15], v[113:114]
	v_fma_f64 v[113:114], v[18:19], s[14:15], -v[113:114]
	v_add_f64_e32 v[0:1], v[26:27], v[0:1]
	v_mul_f64_e32 v[26:27], s[34:35], v[20:21]
	v_add_f64_e32 v[4:5], v[4:5], v[8:9]
	v_add_f64_e32 v[8:9], v[135:136], v[12:13]
	;; [unrolled: 1-line block ×4, first 2 shown]
	v_fma_f64 v[52:53], v[22:23], s[10:11], v[103:104]
	v_add_f64_e32 v[0:1], v[50:51], v[0:1]
	v_mul_f64_e32 v[50:51], s[22:23], v[16:17]
	v_mul_f64_e32 v[16:17], s[24:25], v[16:17]
	v_add_f64_e32 v[8:9], v[113:114], v[8:9]
	v_add_f64_e32 v[12:13], v[107:108], v[12:13]
	;; [unrolled: 1-line block ×3, first 2 shown]
	v_mul_f64_e32 v[30:31], s[28:29], v[20:21]
	v_mul_f64_e32 v[20:21], s[22:23], v[20:21]
	v_fma_f64 v[125:126], v[18:19], s[4:5], v[50:51]
	v_fma_f64 v[50:51], v[18:19], s[4:5], -v[50:51]
	v_fma_f64 v[141:142], v[18:19], s[12:13], v[16:17]
	v_fma_f64 v[16:17], v[18:19], s[12:13], -v[16:17]
	v_add_f64_e32 v[18:19], v[115:116], v[28:29]
	v_add_f64_e32 v[28:29], v[34:35], v[32:33]
	;; [unrolled: 1-line block ×8, first 2 shown]
	v_fma_f64 v[46:47], v[22:23], s[18:19], v[101:102]
	v_fma_f64 v[48:49], v[22:23], s[18:19], -v[101:102]
	v_fma_f64 v[101:102], v[22:23], s[10:11], -v[103:104]
	v_fma_f64 v[103:104], v[22:23], s[12:13], v[105:106]
	v_fma_f64 v[105:106], v[22:23], s[12:13], -v[105:106]
	v_add_f64_e32 v[0:1], v[14:15], v[0:1]
	v_fma_f64 v[14:15], v[22:23], s[20:21], v[26:27]
	v_fma_f64 v[26:27], v[22:23], s[20:21], -v[26:27]
	v_fma_f64 v[44:45], v[22:23], s[14:15], v[30:31]
	v_fma_f64 v[30:31], v[22:23], s[14:15], -v[30:31]
	;; [unrolled: 2-line block ×3, first 2 shown]
	v_add_f64_e32 v[18:19], v[109:110], v[18:19]
	v_add_f64_e32 v[22:23], v[24:25], v[28:29]
	;; [unrolled: 1-line block ×24, first 2 shown]
	ds_store_2addr_b64 v97, v[18:19], v[24:25] offset0:4 offset1:5
	ds_store_2addr_b64 v97, v[26:27], v[4:5] offset0:6 offset1:7
	;; [unrolled: 1-line block ×4, first 2 shown]
	ds_store_b64 v97, v[2:3] offset:96
	ds_store_2addr_b64 v97, v[6:7], v[14:15] offset1:1
	ds_store_2addr_b64 v97, v[12:13], v[10:11] offset0:2 offset1:3
	global_wb scope:SCOPE_SE
	s_wait_dscnt 0x0
	s_barrier_signal -1
	s_barrier_wait -1
	global_inv scope:SCOPE_SE
	ds_load_2addr_b64 v[16:19], v92 offset0:169 offset1:234
	ds_load_2addr_b64 v[20:23], v98 offset0:82 offset1:147
	;; [unrolled: 1-line block ×4, first 2 shown]
	ds_load_b64 v[26:27], v89
	ds_load_b64 v[24:25], v91
                                        ; implicit-def: $vgpr6_vgpr7
	s_and_saveexec_b32 s1, s0
	s_cbranch_execz .LBB0_16
; %bb.15:
	v_add_nc_u32_e32 v0, 0x800, v92
	v_add3_u32 v4, 0, v96, v95
	v_add_nc_u32_e32 v5, 0x1200, v92
	ds_load_2addr_b64 v[0:3], v0 offset0:43 offset1:212
	ds_load_b64 v[30:31], v4
	ds_load_2addr_b64 v[4:7], v5 offset0:61 offset1:230
.LBB0_16:
	s_wait_alu 0xfffe
	s_or_b32 exec_lo, exec_lo, s1
	v_and_b32_e32 v28, 0xff, v90
	v_and_b32_e32 v29, 0xff, v94
	s_mov_b32 s4, 0x134454ff
	s_mov_b32 s5, 0x3fee6f0e
	s_mov_b32 s11, 0xbfee6f0e
	v_mul_lo_u16 v28, 0x4f, v28
	v_mul_lo_u16 v29, 0x4f, v29
	s_wait_alu 0xfffe
	s_mov_b32 s10, s4
	s_mov_b32 s12, 0x4755a5e
	;; [unrolled: 1-line block ×3, first 2 shown]
	v_lshrrev_b16 v143, 10, v28
	v_lshrrev_b16 v144, 10, v29
	s_mov_b32 s15, 0xbfe2cf23
	s_wait_alu 0xfffe
	s_mov_b32 s14, s12
	s_mov_b32 s18, 0x372fe950
	v_mul_lo_u16 v28, v143, 13
	v_mul_lo_u16 v29, v144, 13
	s_mov_b32 s19, 0x3fd3c6ef
	s_delay_alu instid0(VALU_DEP_2) | instskip(NEXT) | instid1(VALU_DEP_2)
	v_sub_nc_u16 v28, v90, v28
	v_sub_nc_u16 v29, v94, v29
	s_delay_alu instid0(VALU_DEP_2) | instskip(NEXT) | instid1(VALU_DEP_2)
	v_and_b32_e32 v145, 0xff, v28
	v_and_b32_e32 v146, 0xff, v29
	s_delay_alu instid0(VALU_DEP_2) | instskip(NEXT) | instid1(VALU_DEP_2)
	v_lshlrev_b32_e32 v28, 6, v145
	v_lshlrev_b32_e32 v29, 6, v146
	s_clause 0x7
	global_load_b128 v[48:51], v28, s[8:9]
	global_load_b128 v[97:100], v28, s[8:9] offset:16
	global_load_b128 v[101:104], v28, s[8:9] offset:32
	;; [unrolled: 1-line block ×3, first 2 shown]
	global_load_b128 v[109:112], v29, s[8:9]
	global_load_b128 v[113:116], v29, s[8:9] offset:16
	global_load_b128 v[117:120], v29, s[8:9] offset:32
	;; [unrolled: 1-line block ×3, first 2 shown]
	v_and_b32_e32 v28, 0xff, v93
	s_delay_alu instid0(VALU_DEP_1) | instskip(NEXT) | instid1(VALU_DEP_1)
	v_mul_lo_u16 v28, 0x4f, v28
	v_lshrrev_b16 v147, 10, v28
	s_delay_alu instid0(VALU_DEP_1) | instskip(NEXT) | instid1(VALU_DEP_1)
	v_mul_lo_u16 v28, v147, 13
	v_sub_nc_u16 v28, v93, v28
	s_delay_alu instid0(VALU_DEP_1) | instskip(NEXT) | instid1(VALU_DEP_1)
	v_and_b32_e32 v148, 0xff, v28
	v_lshlrev_b32_e32 v28, 6, v148
	s_clause 0x3
	global_load_b128 v[125:128], v28, s[8:9]
	global_load_b128 v[129:132], v28, s[8:9] offset:16
	global_load_b128 v[133:136], v28, s[8:9] offset:32
	;; [unrolled: 1-line block ×3, first 2 shown]
	global_wb scope:SCOPE_SE
	s_wait_loadcnt_dscnt 0x0
	s_barrier_signal -1
	s_barrier_wait -1
	global_inv scope:SCOPE_SE
	v_mul_f64_e32 v[28:29], v[16:17], v[50:51]
	v_mul_f64_e32 v[32:33], v[20:21], v[99:100]
	;; [unrolled: 1-line block ×16, first 2 shown]
	v_fma_f64 v[34:35], v[60:61], v[48:49], -v[28:29]
	v_fma_f64 v[36:37], v[64:65], v[97:98], -v[32:33]
	;; [unrolled: 1-line block ×8, first 2 shown]
	v_fma_f64 v[28:29], v[16:17], v[48:49], v[50:51]
	v_fma_f64 v[20:21], v[20:21], v[97:98], v[99:100]
	;; [unrolled: 1-line block ×8, first 2 shown]
	v_mul_f64_e32 v[111:112], v[0:1], v[127:128]
	v_mul_f64_e32 v[113:114], v[82:83], v[127:128]
	;; [unrolled: 1-line block ×7, first 2 shown]
	v_add_f64_e32 v[60:61], v[86:87], v[34:35]
	v_add_f64_e64 v[72:73], v[34:35], -v[36:37]
	v_add_f64_e32 v[22:23], v[36:37], v[42:43]
	v_add_f64_e32 v[48:49], v[34:35], v[44:45]
	;; [unrolled: 1-line block ×3, first 2 shown]
	v_add_f64_e64 v[74:75], v[44:45], -v[42:43]
	v_add_f64_e32 v[50:51], v[32:33], v[40:41]
	v_add_f64_e32 v[52:53], v[38:39], v[46:47]
	v_add_f64_e64 v[93:94], v[38:39], -v[32:33]
	v_add_f64_e64 v[97:98], v[46:47], -v[40:41]
	;; [unrolled: 1-line block ×8, first 2 shown]
	v_fma_f64 v[54:55], v[54:55], v[129:130], -v[115:116]
	v_fma_f64 v[56:57], v[56:57], v[133:134], -v[119:120]
	v_add_f64_e32 v[60:61], v[60:61], v[36:37]
	v_fma_f64 v[22:23], v[22:23], -0.5, v[86:87]
	v_fma_f64 v[48:49], v[48:49], -0.5, v[86:87]
	v_add_f64_e64 v[86:87], v[42:43], -v[44:45]
	v_add_f64_e32 v[66:67], v[66:67], v[32:33]
	v_fma_f64 v[50:51], v[50:51], -0.5, v[84:85]
	v_fma_f64 v[52:53], v[52:53], -0.5, v[84:85]
	v_add_f64_e64 v[84:85], v[36:37], -v[34:35]
	v_add_f64_e32 v[72:73], v[72:73], v[74:75]
	v_fma_f64 v[103:104], v[62:63], s[4:5], v[22:23]
	v_fma_f64 v[22:23], v[62:63], s[10:11], v[22:23]
	;; [unrolled: 1-line block ×8, first 2 shown]
	v_add_f64_e32 v[74:75], v[84:85], v[86:87]
	v_add_f64_e32 v[84:85], v[93:94], v[97:98]
	;; [unrolled: 1-line block ×5, first 2 shown]
	v_fma_f64 v[60:61], v[82:83], v[125:126], -v[111:112]
	v_fma_f64 v[97:98], v[64:65], s[12:13], v[103:104]
	s_wait_alu 0xfffe
	v_fma_f64 v[64:65], v[64:65], s[14:15], v[22:23]
	v_fma_f64 v[99:100], v[62:63], s[12:13], v[105:106]
	;; [unrolled: 1-line block ×3, first 2 shown]
	v_mul_f64_e32 v[103:104], v[58:59], v[139:140]
	v_fma_f64 v[62:63], v[70:71], s[12:13], v[107:108]
	v_fma_f64 v[101:102], v[68:69], s[12:13], v[109:110]
	;; [unrolled: 1-line block ×7, first 2 shown]
	v_fma_f64 v[58:59], v[58:59], v[137:138], -v[123:124]
	v_add_f64_e32 v[0:1], v[93:94], v[44:45]
	v_add_f64_e32 v[2:3], v[66:67], v[46:47]
	v_fma_f64 v[4:5], v[72:73], s[18:19], v[97:98]
	v_fma_f64 v[66:67], v[72:73], s[18:19], v[64:65]
	;; [unrolled: 1-line block ×9, first 2 shown]
	v_and_b32_e32 v6, 0xffff, v143
	v_and_b32_e32 v7, 0xffff, v144
	v_lshlrev_b32_e32 v64, 3, v145
	v_lshlrev_b32_e32 v65, 3, v146
	v_and_b32_e32 v62, 0xffff, v147
	v_mad_u32_u24 v6, 0x208, v6, 0
	v_mad_u32_u24 v7, 0x208, v7, 0
	v_lshlrev_b32_e32 v63, 3, v148
	s_delay_alu instid0(VALU_DEP_3) | instskip(NEXT) | instid1(VALU_DEP_3)
	v_add3_u32 v64, v6, v64, v95
	v_add3_u32 v65, v7, v65, v95
	ds_store_2addr_b64 v64, v[0:1], v[4:5] offset1:13
	ds_store_2addr_b64 v64, v[72:73], v[74:75] offset0:26 offset1:39
	ds_store_b64 v64, v[66:67] offset:416
	ds_store_2addr_b64 v65, v[2:3], v[82:83] offset1:13
	ds_store_2addr_b64 v65, v[93:94], v[68:69] offset0:26 offset1:39
	ds_store_b64 v65, v[70:71] offset:416
	s_and_saveexec_b32 s1, s0
	s_cbranch_execz .LBB0_18
; %bb.17:
	v_add_f64_e32 v[2:3], v[54:55], v[56:57]
	v_add_f64_e32 v[0:1], v[60:61], v[58:59]
	v_add_f64_e64 v[6:7], v[52:53], -v[48:49]
	v_add_f64_e32 v[66:67], v[80:81], v[60:61]
	v_add_f64_e64 v[4:5], v[50:51], -v[22:23]
	v_add_f64_e64 v[68:69], v[54:55], -v[60:61]
	;; [unrolled: 1-line block ×5, first 2 shown]
	v_fma_f64 v[2:3], v[2:3], -0.5, v[80:81]
	v_fma_f64 v[0:1], v[0:1], -0.5, v[80:81]
	v_add_f64_e32 v[66:67], v[66:67], v[54:55]
	v_add_f64_e32 v[68:69], v[68:69], v[70:71]
	;; [unrolled: 1-line block ×3, first 2 shown]
	v_fma_f64 v[82:83], v[6:7], s[4:5], v[2:3]
	v_fma_f64 v[80:81], v[4:5], s[4:5], v[0:1]
	;; [unrolled: 1-line block ×4, first 2 shown]
	v_add_f64_e32 v[66:67], v[66:67], v[56:57]
	v_fma_f64 v[74:75], v[4:5], s[12:13], v[82:83]
	v_fma_f64 v[72:73], v[6:7], s[14:15], v[80:81]
	;; [unrolled: 1-line block ×4, first 2 shown]
	v_add_f64_e32 v[4:5], v[66:67], v[58:59]
	v_fma_f64 v[66:67], v[70:71], s[18:19], v[74:75]
	v_fma_f64 v[6:7], v[68:69], s[18:19], v[72:73]
	;; [unrolled: 1-line block ×4, first 2 shown]
	v_mad_u32_u24 v68, 0x208, v62, 0
	s_delay_alu instid0(VALU_DEP_1)
	v_add3_u32 v68, v68, v63, v95
	ds_store_2addr_b64 v68, v[4:5], v[66:67] offset1:13
	ds_store_2addr_b64 v68, v[0:1], v[6:7] offset0:26 offset1:39
	ds_store_b64 v68, v[2:3] offset:416
.LBB0_18:
	s_wait_alu 0xfffe
	s_or_b32 exec_lo, exec_lo, s1
	v_add_f64_e32 v[0:1], v[20:21], v[16:17]
	v_add_f64_e32 v[2:3], v[28:29], v[8:9]
	;; [unrolled: 1-line block ×5, first 2 shown]
	v_add_f64_e64 v[34:35], v[34:35], -v[44:45]
	v_add_f64_e64 v[36:37], v[36:37], -v[42:43]
	v_add_f64_e32 v[42:43], v[24:25], v[18:19]
	v_add_f64_e64 v[38:39], v[38:39], -v[46:47]
	v_add_f64_e64 v[44:45], v[18:19], -v[12:13]
	;; [unrolled: 1-line block ×5, first 2 shown]
	global_wb scope:SCOPE_SE
	s_wait_dscnt 0x0
	s_barrier_signal -1
	s_barrier_wait -1
	global_inv scope:SCOPE_SE
	v_fma_f64 v[0:1], v[0:1], -0.5, v[26:27]
	v_fma_f64 v[2:3], v[2:3], -0.5, v[26:27]
	;; [unrolled: 1-line block ×3, first 2 shown]
	v_add_f64_e64 v[26:27], v[32:33], -v[40:41]
	v_fma_f64 v[6:7], v[6:7], -0.5, v[24:25]
	v_add_f64_e64 v[24:25], v[28:29], -v[20:21]
	v_add_f64_e64 v[32:33], v[8:9], -v[16:17]
	;; [unrolled: 1-line block ×3, first 2 shown]
	v_add_f64_e32 v[20:21], v[66:67], v[20:21]
	v_add_f64_e32 v[12:13], v[42:43], v[12:13]
	v_add_f64_e64 v[40:41], v[16:17], -v[8:9]
	v_add_f64_e32 v[18:19], v[18:19], v[68:69]
	v_fma_f64 v[42:43], v[34:35], s[10:11], v[0:1]
	v_fma_f64 v[66:67], v[36:37], s[4:5], v[2:3]
	v_fma_f64 v[2:3], v[36:37], s[10:11], v[2:3]
	v_fma_f64 v[0:1], v[34:35], s[4:5], v[0:1]
	v_fma_f64 v[70:71], v[38:39], s[10:11], v[4:5]
	v_fma_f64 v[72:73], v[26:27], s[4:5], v[6:7]
	v_fma_f64 v[6:7], v[26:27], s[10:11], v[6:7]
	v_fma_f64 v[4:5], v[38:39], s[4:5], v[4:5]
	v_add_f64_e32 v[24:25], v[24:25], v[32:33]
	v_add_f64_e32 v[16:17], v[20:21], v[16:17]
	;; [unrolled: 1-line block ×5, first 2 shown]
	v_add3_u32 v40, 0, v96, v95
	v_add_nc_u32_e32 v47, 0x1400, v92
	v_fma_f64 v[12:13], v[36:37], s[14:15], v[42:43]
	v_fma_f64 v[20:21], v[34:35], s[14:15], v[66:67]
	;; [unrolled: 1-line block ×8, first 2 shown]
	v_add_f64_e32 v[38:39], v[16:17], v[8:9]
	v_add_f64_e32 v[41:42], v[10:11], v[14:15]
	v_fma_f64 v[43:44], v[24:25], s[18:19], v[12:13]
	v_fma_f64 v[20:21], v[28:29], s[18:19], v[20:21]
	v_fma_f64 v[66:67], v[28:29], s[18:19], v[2:3]
	v_fma_f64 v[45:46], v[24:25], s[18:19], v[0:1]
	v_fma_f64 v[34:35], v[32:33], s[18:19], v[34:35]
	v_fma_f64 v[36:37], v[18:19], s[18:19], v[36:37]
	v_fma_f64 v[68:69], v[18:19], s[18:19], v[6:7]
	v_fma_f64 v[32:33], v[32:33], s[18:19], v[4:5]
	v_add_nc_u32_e32 v0, 0x400, v92
	v_add_nc_u32_e32 v1, 0x800, v92
	;; [unrolled: 1-line block ×4, first 2 shown]
	ds_load_b64 v[24:25], v89
	ds_load_b64 v[26:27], v91
	;; [unrolled: 1-line block ×3, first 2 shown]
	ds_load_2addr_b64 v[8:11], v0 offset0:67 offset1:132
	ds_load_2addr_b64 v[16:19], v1 offset0:69 offset1:134
	;; [unrolled: 1-line block ×5, first 2 shown]
	global_wb scope:SCOPE_SE
	s_wait_dscnt 0x0
	s_barrier_signal -1
	s_barrier_wait -1
	global_inv scope:SCOPE_SE
	ds_store_2addr_b64 v64, v[38:39], v[43:44] offset1:13
	ds_store_2addr_b64 v64, v[20:21], v[66:67] offset0:26 offset1:39
	ds_store_b64 v64, v[45:46] offset:416
	ds_store_2addr_b64 v65, v[41:42], v[34:35] offset1:13
	ds_store_2addr_b64 v65, v[36:37], v[68:69] offset0:26 offset1:39
	ds_store_b64 v65, v[32:33] offset:416
	s_and_saveexec_b32 s1, s0
	s_cbranch_execz .LBB0_20
; %bb.19:
	v_add_f64_e32 v[20:21], v[50:51], v[22:23]
	v_add_f64_e32 v[32:33], v[52:53], v[48:49]
	;; [unrolled: 1-line block ×3, first 2 shown]
	v_add_f64_e64 v[36:37], v[60:61], -v[58:59]
	v_add_f64_e64 v[38:39], v[54:55], -v[56:57]
	s_mov_b32 s4, 0x134454ff
	s_mov_b32 s5, 0xbfee6f0e
	;; [unrolled: 1-line block ×3, first 2 shown]
	s_wait_alu 0xfffe
	s_mov_b32 s10, s4
	v_add_f64_e64 v[41:42], v[48:49], -v[22:23]
	v_add_f64_e64 v[43:44], v[50:51], -v[52:53]
	;; [unrolled: 1-line block ×3, first 2 shown]
	v_fma_f64 v[20:21], v[20:21], -0.5, v[30:31]
	v_fma_f64 v[30:31], v[32:33], -0.5, v[30:31]
	v_add_f64_e64 v[32:33], v[52:53], -v[50:51]
	v_add_f64_e32 v[34:35], v[34:35], v[50:51]
	s_delay_alu instid0(VALU_DEP_4) | instskip(SKIP_1) | instid1(VALU_DEP_4)
	v_fma_f64 v[50:51], v[36:37], s[4:5], v[20:21]
	s_wait_alu 0xfffe
	v_fma_f64 v[52:53], v[38:39], s[10:11], v[30:31]
	v_fma_f64 v[30:31], v[38:39], s[4:5], v[30:31]
	;; [unrolled: 1-line block ×3, first 2 shown]
	s_mov_b32 s4, 0x4755a5e
	s_mov_b32 s5, 0xbfe2cf23
	;; [unrolled: 1-line block ×3, first 2 shown]
	s_wait_alu 0xfffe
	s_mov_b32 s10, s4
	v_add_f64_e32 v[32:33], v[32:33], v[41:42]
	v_add_f64_e32 v[22:23], v[34:35], v[22:23]
	;; [unrolled: 1-line block ×3, first 2 shown]
	v_fma_f64 v[34:35], v[38:39], s[4:5], v[50:51]
	v_fma_f64 v[43:44], v[36:37], s[4:5], v[52:53]
	s_wait_alu 0xfffe
	v_fma_f64 v[30:31], v[36:37], s[10:11], v[30:31]
	v_fma_f64 v[20:21], v[38:39], s[10:11], v[20:21]
	s_mov_b32 s4, 0x372fe950
	s_mov_b32 s5, 0x3fd3c6ef
	v_add_f64_e32 v[22:23], v[22:23], v[48:49]
	s_wait_alu 0xfffe
	v_fma_f64 v[34:35], v[32:33], s[4:5], v[34:35]
	v_fma_f64 v[36:37], v[41:42], s[4:5], v[43:44]
	;; [unrolled: 1-line block ×4, first 2 shown]
	v_mad_u32_u24 v32, 0x208, v62, 0
	s_delay_alu instid0(VALU_DEP_1)
	v_add3_u32 v32, v32, v63, v95
	ds_store_2addr_b64 v32, v[22:23], v[34:35] offset1:13
	ds_store_2addr_b64 v32, v[36:37], v[30:31] offset0:26 offset1:39
	ds_store_b64 v32, v[20:21] offset:416
.LBB0_20:
	s_wait_alu 0xfffe
	s_or_b32 exec_lo, exec_lo, s1
	global_wb scope:SCOPE_SE
	s_wait_dscnt 0x0
	s_barrier_signal -1
	s_barrier_wait -1
	global_inv scope:SCOPE_SE
	s_and_saveexec_b32 s0, vcc_lo
	s_cbranch_execz .LBB0_22
; %bb.21:
	v_mul_u32_u24_e32 v20, 12, v90
	v_add_nc_u32_e32 v30, 0x800, v92
	v_add_nc_u32_e32 v46, 0x400, v92
	;; [unrolled: 1-line block ×3, first 2 shown]
	s_mov_b32 s0, 0x1ea71119
	v_lshlrev_b32_e32 v41, 4, v20
	s_mov_b32 s4, 0x4267c47c
	s_mov_b32 s1, 0x3fe22d96
	;; [unrolled: 1-line block ×4, first 2 shown]
	s_clause 0x1
	global_load_b128 v[20:23], v41, s[8:9] offset:912
	global_load_b128 v[32:35], v41, s[8:9] offset:896
	ds_load_2addr_b64 v[36:39], v30 offset0:69 offset1:134
	s_mov_b32 s27, 0xbfea55e2
	s_mov_b32 s18, 0x66966769
	;; [unrolled: 1-line block ×6, first 2 shown]
	s_wait_alu 0xfffe
	s_mov_b32 s28, s10
	s_mov_b32 s12, 0xd0032e0c
	;; [unrolled: 1-line block ×6, first 2 shown]
	s_wait_alu 0xfffe
	s_mov_b32 s24, s14
	s_mov_b32 s22, 0x4bc48dbf
	;; [unrolled: 1-line block ×4, first 2 shown]
	s_wait_alu 0xfffe
	s_mov_b32 s36, s22
	v_add_nc_u32_e32 v84, 0x41, v88
	s_mov_b32 s31, 0x3fefc445
	s_mov_b32 s30, s18
	;; [unrolled: 1-line block ×4, first 2 shown]
	v_add_nc_u32_e32 v109, 0x82, v88
	v_add_nc_u32_e32 v133, 0xc3, v88
	s_mov_b32 s39, 0x3fea55e2
	s_mov_b32 s38, s26
	v_add_nc_u32_e32 v157, 0x104, v88
	v_add_nc_u32_e32 v181, 0x145, v88
	s_wait_loadcnt 0x1
	v_mul_f64_e32 v[42:43], v[18:19], v[22:23]
	s_wait_dscnt 0x0
	v_mul_f64_e32 v[22:23], v[38:39], v[22:23]
	s_delay_alu instid0(VALU_DEP_2) | instskip(NEXT) | instid1(VALU_DEP_2)
	v_fma_f64 v[30:31], v[38:39], v[20:21], v[42:43]
	v_fma_f64 v[20:21], v[18:19], v[20:21], -v[22:23]
	s_wait_loadcnt 0x0
	v_mul_f64_e32 v[18:19], v[16:17], v[34:35]
	v_mul_f64_e32 v[22:23], v[36:37], v[34:35]
	v_add_nc_u32_e32 v42, 0xc00, v92
	s_delay_alu instid0(VALU_DEP_3) | instskip(NEXT) | instid1(VALU_DEP_3)
	v_fma_f64 v[18:19], v[36:37], v[32:33], v[18:19]
	v_fma_f64 v[16:17], v[16:17], v[32:33], -v[22:23]
	s_clause 0x1
	global_load_b128 v[32:35], v41, s[8:9] offset:928
	global_load_b128 v[36:39], v41, s[8:9] offset:944
	ds_load_2addr_b64 v[42:45], v42 offset0:71 offset1:136
	s_wait_loadcnt 0x1
	v_mul_f64_e32 v[22:23], v[12:13], v[34:35]
	s_wait_dscnt 0x0
	v_mul_f64_e32 v[34:35], v[42:43], v[34:35]
	s_delay_alu instid0(VALU_DEP_2) | instskip(NEXT) | instid1(VALU_DEP_2)
	v_fma_f64 v[22:23], v[42:43], v[32:33], v[22:23]
	v_fma_f64 v[32:33], v[12:13], v[32:33], -v[34:35]
	s_wait_loadcnt 0x0
	v_mul_f64_e32 v[12:13], v[14:15], v[38:39]
	v_mul_f64_e32 v[34:35], v[44:45], v[38:39]
	s_delay_alu instid0(VALU_DEP_2) | instskip(NEXT) | instid1(VALU_DEP_2)
	v_fma_f64 v[12:13], v[44:45], v[36:37], v[12:13]
	v_fma_f64 v[14:15], v[14:15], v[36:37], -v[34:35]
	s_clause 0x1
	global_load_b128 v[36:39], v41, s[8:9] offset:880
	global_load_b128 v[42:45], v41, s[8:9] offset:864
	ds_load_2addr_b64 v[46:49], v46 offset0:67 offset1:132
	s_wait_loadcnt 0x1
	v_mul_f64_e32 v[34:35], v[10:11], v[38:39]
	s_wait_dscnt 0x0
	v_mul_f64_e32 v[38:39], v[48:49], v[38:39]
	s_delay_alu instid0(VALU_DEP_2) | instskip(NEXT) | instid1(VALU_DEP_2)
	v_fma_f64 v[34:35], v[48:49], v[36:37], v[34:35]
	v_fma_f64 v[10:11], v[10:11], v[36:37], -v[38:39]
	s_wait_loadcnt 0x0
	v_mul_f64_e32 v[36:37], v[8:9], v[44:45]
	v_mul_f64_e32 v[38:39], v[46:47], v[44:45]
	s_delay_alu instid0(VALU_DEP_2) | instskip(NEXT) | instid1(VALU_DEP_2)
	v_fma_f64 v[36:37], v[46:47], v[42:43], v[36:37]
	v_fma_f64 v[8:9], v[8:9], v[42:43], -v[38:39]
	s_clause 0x1
	global_load_b128 v[42:45], v41, s[8:9] offset:960
	global_load_b128 v[46:49], v41, s[8:9] offset:976
	ds_load_2addr_b64 v[50:53], v50 offset0:73 offset1:138
	s_wait_loadcnt 0x1
	v_mul_f64_e32 v[38:39], v[4:5], v[44:45]
	s_wait_dscnt 0x0
	v_mul_f64_e32 v[44:45], v[50:51], v[44:45]
	s_delay_alu instid0(VALU_DEP_2) | instskip(NEXT) | instid1(VALU_DEP_2)
	v_fma_f64 v[38:39], v[50:51], v[42:43], v[38:39]
	v_fma_f64 v[4:5], v[4:5], v[42:43], -v[44:45]
	s_wait_loadcnt 0x0
	v_mul_f64_e32 v[42:43], v[6:7], v[48:49]
	v_add_nc_u32_e32 v50, 0x1400, v92
	s_delay_alu instid0(VALU_DEP_2) | instskip(SKIP_1) | instid1(VALU_DEP_1)
	v_fma_f64 v[54:55], v[52:53], v[46:47], v[42:43]
	v_mul_f64_e32 v[42:43], v[52:53], v[48:49]
	v_fma_f64 v[6:7], v[6:7], v[46:47], -v[42:43]
	s_clause 0x1
	global_load_b128 v[42:45], v41, s[8:9] offset:992
	global_load_b128 v[46:49], v41, s[8:9] offset:1008
	ds_load_2addr_b64 v[50:53], v50 offset0:75 offset1:140
	s_wait_loadcnt 0x1
	v_mul_f64_e32 v[56:57], v[0:1], v[44:45]
	s_wait_dscnt 0x0
	v_mul_f64_e32 v[44:45], v[50:51], v[44:45]
	s_delay_alu instid0(VALU_DEP_2) | instskip(NEXT) | instid1(VALU_DEP_2)
	v_fma_f64 v[56:57], v[50:51], v[42:43], v[56:57]
	v_fma_f64 v[44:45], v[0:1], v[42:43], -v[44:45]
	s_wait_loadcnt 0x0
	v_mul_f64_e32 v[0:1], v[2:3], v[48:49]
	s_delay_alu instid0(VALU_DEP_1)
	v_fma_f64 v[50:51], v[52:53], v[46:47], v[0:1]
	v_mul_f64_e32 v[0:1], v[52:53], v[48:49]
	ds_load_b64 v[48:49], v40
	ds_load_b64 v[52:53], v91
	v_fma_f64 v[46:47], v[2:3], v[46:47], -v[0:1]
	s_clause 0x1
	global_load_b128 v[0:3], v41, s[8:9] offset:848
	global_load_b128 v[40:43], v41, s[8:9] offset:832
	s_mov_b32 s8, 0xb2365da1
	s_mov_b32 s9, 0xbfd6b1d8
	s_wait_loadcnt 0x1
	v_mul_f64_e32 v[58:59], v[28:29], v[2:3]
	s_wait_dscnt 0x1
	v_mul_f64_e32 v[2:3], v[48:49], v[2:3]
	s_delay_alu instid0(VALU_DEP_2) | instskip(NEXT) | instid1(VALU_DEP_2)
	v_fma_f64 v[58:59], v[48:49], v[0:1], v[58:59]
	v_fma_f64 v[48:49], v[28:29], v[0:1], -v[2:3]
	s_wait_loadcnt 0x0
	v_mul_f64_e32 v[2:3], v[26:27], v[42:43]
	ds_load_b64 v[0:1], v89
	s_wait_dscnt 0x1
	v_fma_f64 v[60:61], v[52:53], v[40:41], v[2:3]
	v_mul_f64_e32 v[2:3], v[52:53], v[42:43]
	s_delay_alu instid0(VALU_DEP_1)
	v_fma_f64 v[40:41], v[26:27], v[40:41], -v[2:3]
	v_mul_lo_u32 v26, s3, v78
	v_mul_lo_u32 v27, s2, v79
	v_mad_co_u64_u32 v[2:3], null, s2, v78, 0
	s_mov_b32 s2, 0xe00740e9
	s_mov_b32 s3, 0x3fec55a7
	s_delay_alu instid0(VALU_DEP_1) | instskip(SKIP_2) | instid1(VALU_DEP_2)
	v_add3_u32 v3, v3, v27, v26
	s_wait_dscnt 0x0
	v_add_f64_e32 v[26:27], v[0:1], v[60:61]
	v_lshlrev_b64_e32 v[2:3], 4, v[2:3]
	v_add_f64_e32 v[28:29], v[24:25], v[40:41]
	s_delay_alu instid0(VALU_DEP_3) | instskip(NEXT) | instid1(VALU_DEP_2)
	v_add_f64_e32 v[26:27], v[58:59], v[26:27]
	v_add_f64_e32 v[28:29], v[48:49], v[28:29]
	s_delay_alu instid0(VALU_DEP_2) | instskip(NEXT) | instid1(VALU_DEP_2)
	v_add_f64_e32 v[26:27], v[36:37], v[26:27]
	v_add_f64_e32 v[28:29], v[8:9], v[28:29]
	s_delay_alu instid0(VALU_DEP_2) | instskip(NEXT) | instid1(VALU_DEP_2)
	;; [unrolled: 3-line block ×10, first 2 shown]
	v_add_f64_e32 v[28:29], v[50:51], v[26:27]
	v_add_f64_e32 v[26:27], v[46:47], v[42:43]
	v_mad_co_u64_u32 v[42:43], null, s16, v88, 0
	s_delay_alu instid0(VALU_DEP_1) | instskip(NEXT) | instid1(VALU_DEP_1)
	v_mad_co_u64_u32 v[52:53], null, s17, v88, v[43:44]
	v_mov_b32_e32 v43, v52
	v_add_co_u32 v52, vcc_lo, s6, v2
	s_wait_alu 0xfffd
	v_add_co_ci_u32_e32 v53, vcc_lo, s7, v3, vcc_lo
	v_lshlrev_b64_e32 v[2:3], 4, v[76:77]
	v_lshlrev_b64_e32 v[42:43], 4, v[42:43]
	s_mov_b32 s6, 0xebaa3ed8
	s_mov_b32 s7, 0x3fbedb7d
	s_delay_alu instid0(VALU_DEP_2) | instskip(SKIP_3) | instid1(VALU_DEP_3)
	v_add_co_u32 v2, vcc_lo, v52, v2
	s_wait_alu 0xfffd
	v_add_co_ci_u32_e32 v3, vcc_lo, v53, v3, vcc_lo
	v_add_f64_e64 v[52:53], v[48:49], -v[44:45]
	v_add_co_u32 v42, vcc_lo, v2, v42
	s_wait_alu 0xfffd
	s_delay_alu instid0(VALU_DEP_3)
	v_add_co_ci_u32_e32 v43, vcc_lo, v3, v43, vcc_lo
	v_add_f64_e32 v[44:45], v[48:49], v[44:45]
	v_add_f64_e32 v[48:49], v[30:31], v[22:23]
	v_add_f64_e64 v[22:23], v[30:31], -v[22:23]
	global_store_b128 v[42:43], v[26:29], off
	v_add_f64_e32 v[26:27], v[60:61], v[50:51]
	v_add_f64_e64 v[28:29], v[60:61], -v[50:51]
	v_add_f64_e64 v[42:43], v[40:41], -v[46:47]
	v_add_f64_e32 v[40:41], v[40:41], v[46:47]
	v_add_f64_e32 v[46:47], v[58:59], v[56:57]
	v_add_f64_e64 v[50:51], v[58:59], -v[56:57]
	v_add_f64_e64 v[30:31], v[20:21], -v[32:33]
	v_add_f64_e32 v[20:21], v[20:21], v[32:33]
	;; [unrolled: 4-line block ×5, first 2 shown]
	v_mul_f64_e32 v[80:81], s[20:21], v[48:49]
	s_wait_alu 0xfffe
	v_mul_f64_e32 v[82:83], s[36:37], v[22:23]
	v_mul_f64_e32 v[105:106], s[2:3], v[48:49]
	v_mul_f64_e32 v[60:61], s[2:3], v[26:27]
	v_mul_f64_e32 v[64:65], s[4:5], v[28:29]
	v_mul_f64_e32 v[86:87], s[26:27], v[28:29]
	v_mul_f64_e32 v[107:108], s[34:35], v[22:23]
	v_mul_f64_e32 v[62:63], s[0:1], v[46:47]
	v_mul_f64_e32 v[66:67], s[26:27], v[50:51]
	v_mul_f64_e32 v[89:90], s[28:29], v[50:51]
	v_mul_f64_e32 v[111:112], s[18:19], v[28:29]
	v_mul_f64_e32 v[68:69], s[6:7], v[32:33]
	v_mul_f64_e32 v[70:71], s[18:19], v[36:37]
	v_mul_f64_e32 v[113:114], s[36:37], v[50:51]
	v_mul_f64_e32 v[129:130], s[12:13], v[48:49]
	v_mul_f64_e32 v[76:77], s[12:13], v[8:9]
	v_mul_f64_e32 v[78:79], s[24:25], v[12:13]
	v_mul_f64_e32 v[131:132], s[24:25], v[22:23]
	v_mul_f64_e32 v[135:136], s[28:29], v[28:29]
	v_mul_f64_e32 v[72:73], s[8:9], v[16:17]
	v_mul_f64_e32 v[74:75], s[28:29], v[34:35]
	v_mul_f64_e32 v[137:138], s[14:15], v[50:51]
	v_mul_f64_e32 v[153:154], s[0:1], v[48:49]
	v_mul_f64_e32 v[155:156], s[38:39], v[22:23]
	v_mul_f64_e32 v[159:160], s[24:25], v[28:29]
	v_mul_f64_e32 v[161:162], s[30:31], v[50:51]
	v_mul_f64_e32 v[177:178], s[8:9], v[48:49]
	v_mul_f64_e32 v[179:180], s[28:29], v[22:23]
	v_mul_f64_e32 v[28:29], s[36:37], v[28:29]
	v_mul_f64_e32 v[50:51], s[34:35], v[50:51]
	v_mul_f64_e32 v[48:49], s[6:7], v[48:49]
	v_mul_f64_e32 v[22:23], s[30:31], v[22:23]
	v_fma_f64 v[4:5], v[42:43], s[4:5], v[60:61]
	v_fma_f64 v[6:7], v[52:53], s[26:27], v[62:63]
	v_fma_f64 v[10:11], v[44:45], s[0:1], -v[66:67]
	v_fma_f64 v[91:92], v[44:45], s[8:9], -v[89:90]
	;; [unrolled: 1-line block ×5, first 2 shown]
	v_add_f64_e32 v[4:5], v[0:1], v[4:5]
	s_delay_alu instid0(VALU_DEP_1) | instskip(SKIP_1) | instid1(VALU_DEP_1)
	v_add_f64_e32 v[4:5], v[6:7], v[4:5]
	v_fma_f64 v[6:7], v[40:41], s[2:3], -v[64:65]
	v_add_f64_e32 v[6:7], v[24:25], v[6:7]
	s_delay_alu instid0(VALU_DEP_1) | instskip(SKIP_1) | instid1(VALU_DEP_1)
	v_add_f64_e32 v[6:7], v[10:11], v[6:7]
	v_fma_f64 v[10:11], v[54:55], s[18:19], v[68:69]
	v_add_f64_e32 v[4:5], v[10:11], v[4:5]
	v_fma_f64 v[10:11], v[56:57], s[6:7], -v[70:71]
	s_delay_alu instid0(VALU_DEP_1) | instskip(SKIP_1) | instid1(VALU_DEP_1)
	v_add_f64_e32 v[6:7], v[10:11], v[6:7]
	v_fma_f64 v[10:11], v[38:39], s[28:29], v[72:73]
	v_add_f64_e32 v[4:5], v[10:11], v[4:5]
	v_fma_f64 v[10:11], v[58:59], s[8:9], -v[74:75]
	s_delay_alu instid0(VALU_DEP_1) | instskip(SKIP_1) | instid1(VALU_DEP_1)
	v_add_f64_e32 v[6:7], v[10:11], v[6:7]
	v_fma_f64 v[10:11], v[18:19], s[24:25], v[76:77]
	v_add_f64_e32 v[4:5], v[10:11], v[4:5]
	v_fma_f64 v[10:11], v[14:15], s[12:13], -v[78:79]
	s_delay_alu instid0(VALU_DEP_1) | instskip(SKIP_1) | instid1(VALU_DEP_1)
	v_add_f64_e32 v[10:11], v[10:11], v[6:7]
	v_fma_f64 v[6:7], v[30:31], s[36:37], v[80:81]
	v_add_f64_e32 v[6:7], v[6:7], v[4:5]
	v_fma_f64 v[4:5], v[20:21], s[20:21], -v[82:83]
	s_delay_alu instid0(VALU_DEP_1) | instskip(SKIP_1) | instid1(VALU_DEP_1)
	v_add_f64_e32 v[4:5], v[4:5], v[10:11]
	v_mad_co_u64_u32 v[10:11], null, s16, v84, 0
	v_mad_co_u64_u32 v[84:85], null, s17, v84, v[11:12]
	s_delay_alu instid0(VALU_DEP_1) | instskip(SKIP_1) | instid1(VALU_DEP_2)
	v_mov_b32_e32 v11, v84
	v_mul_f64_e32 v[84:85], s[8:9], v[46:47]
	v_lshlrev_b64_e32 v[10:11], 4, v[10:11]
	s_delay_alu instid0(VALU_DEP_1) | instskip(SKIP_1) | instid1(VALU_DEP_2)
	v_add_co_u32 v10, vcc_lo, v2, v10
	s_wait_alu 0xfffd
	v_add_co_ci_u32_e32 v11, vcc_lo, v3, v11, vcc_lo
	global_store_b128 v[10:11], v[4:7], off
	v_mul_f64_e32 v[10:11], s[0:1], v[26:27]
	v_fma_f64 v[6:7], v[52:53], s[28:29], v[84:85]
	s_delay_alu instid0(VALU_DEP_2) | instskip(NEXT) | instid1(VALU_DEP_1)
	v_fma_f64 v[4:5], v[42:43], s[26:27], v[10:11]
	v_add_f64_e32 v[4:5], v[0:1], v[4:5]
	s_delay_alu instid0(VALU_DEP_1) | instskip(SKIP_1) | instid1(VALU_DEP_1)
	v_add_f64_e32 v[4:5], v[6:7], v[4:5]
	v_fma_f64 v[6:7], v[40:41], s[0:1], -v[86:87]
	v_add_f64_e32 v[6:7], v[24:25], v[6:7]
	s_delay_alu instid0(VALU_DEP_1) | instskip(SKIP_1) | instid1(VALU_DEP_1)
	v_add_f64_e32 v[6:7], v[91:92], v[6:7]
	v_mul_f64_e32 v[91:92], s[20:21], v[32:33]
	v_fma_f64 v[93:94], v[54:55], s[36:37], v[91:92]
	s_delay_alu instid0(VALU_DEP_1) | instskip(SKIP_1) | instid1(VALU_DEP_1)
	v_add_f64_e32 v[4:5], v[93:94], v[4:5]
	v_mul_f64_e32 v[93:94], s[36:37], v[36:37]
	v_fma_f64 v[95:96], v[56:57], s[20:21], -v[93:94]
	s_delay_alu instid0(VALU_DEP_1) | instskip(SKIP_1) | instid1(VALU_DEP_1)
	v_add_f64_e32 v[6:7], v[95:96], v[6:7]
	v_mul_f64_e32 v[95:96], s[12:13], v[16:17]
	v_fma_f64 v[97:98], v[38:39], s[14:15], v[95:96]
	s_delay_alu instid0(VALU_DEP_1) | instskip(SKIP_1) | instid1(VALU_DEP_1)
	v_add_f64_e32 v[4:5], v[97:98], v[4:5]
	v_mul_f64_e32 v[97:98], s[14:15], v[34:35]
	v_fma_f64 v[99:100], v[58:59], s[12:13], -v[97:98]
	s_delay_alu instid0(VALU_DEP_1) | instskip(SKIP_1) | instid1(VALU_DEP_1)
	v_add_f64_e32 v[6:7], v[99:100], v[6:7]
	v_mul_f64_e32 v[99:100], s[6:7], v[8:9]
	v_fma_f64 v[101:102], v[18:19], s[30:31], v[99:100]
	s_delay_alu instid0(VALU_DEP_1) | instskip(SKIP_1) | instid1(VALU_DEP_1)
	v_add_f64_e32 v[4:5], v[101:102], v[4:5]
	v_mul_f64_e32 v[101:102], s[30:31], v[12:13]
	v_fma_f64 v[103:104], v[14:15], s[6:7], -v[101:102]
	s_delay_alu instid0(VALU_DEP_1) | instskip(SKIP_1) | instid1(VALU_DEP_1)
	v_add_f64_e32 v[103:104], v[103:104], v[6:7]
	v_fma_f64 v[6:7], v[30:31], s[34:35], v[105:106]
	v_add_f64_e32 v[6:7], v[6:7], v[4:5]
	v_fma_f64 v[4:5], v[20:21], s[2:3], -v[107:108]
	s_delay_alu instid0(VALU_DEP_1) | instskip(SKIP_1) | instid1(VALU_DEP_1)
	v_add_f64_e32 v[4:5], v[4:5], v[103:104]
	v_mad_co_u64_u32 v[103:104], null, s16, v109, 0
	v_mad_co_u64_u32 v[109:110], null, s17, v109, v[104:105]
	s_delay_alu instid0(VALU_DEP_1) | instskip(SKIP_1) | instid1(VALU_DEP_2)
	v_mov_b32_e32 v104, v109
	v_mul_f64_e32 v[109:110], s[20:21], v[46:47]
	v_lshlrev_b64_e32 v[103:104], 4, v[103:104]
	s_delay_alu instid0(VALU_DEP_1) | instskip(SKIP_1) | instid1(VALU_DEP_2)
	v_add_co_u32 v103, vcc_lo, v2, v103
	s_wait_alu 0xfffd
	v_add_co_ci_u32_e32 v104, vcc_lo, v3, v104, vcc_lo
	global_store_b128 v[103:104], v[4:7], off
	v_mul_f64_e32 v[103:104], s[6:7], v[26:27]
	v_fma_f64 v[6:7], v[52:53], s[36:37], v[109:110]
	s_delay_alu instid0(VALU_DEP_2) | instskip(NEXT) | instid1(VALU_DEP_1)
	v_fma_f64 v[4:5], v[42:43], s[18:19], v[103:104]
	v_add_f64_e32 v[4:5], v[0:1], v[4:5]
	s_delay_alu instid0(VALU_DEP_1) | instskip(SKIP_1) | instid1(VALU_DEP_1)
	v_add_f64_e32 v[4:5], v[6:7], v[4:5]
	v_fma_f64 v[6:7], v[40:41], s[6:7], -v[111:112]
	v_add_f64_e32 v[6:7], v[24:25], v[6:7]
	s_delay_alu instid0(VALU_DEP_1) | instskip(SKIP_1) | instid1(VALU_DEP_1)
	v_add_f64_e32 v[6:7], v[115:116], v[6:7]
	v_mul_f64_e32 v[115:116], s[8:9], v[32:33]
	v_fma_f64 v[117:118], v[54:55], s[10:11], v[115:116]
	s_delay_alu instid0(VALU_DEP_1) | instskip(SKIP_1) | instid1(VALU_DEP_1)
	v_add_f64_e32 v[4:5], v[117:118], v[4:5]
	v_mul_f64_e32 v[117:118], s[10:11], v[36:37]
	v_fma_f64 v[119:120], v[56:57], s[8:9], -v[117:118]
	s_delay_alu instid0(VALU_DEP_1) | instskip(SKIP_1) | instid1(VALU_DEP_1)
	v_add_f64_e32 v[6:7], v[119:120], v[6:7]
	v_mul_f64_e32 v[119:120], s[2:3], v[16:17]
	v_fma_f64 v[121:122], v[38:39], s[34:35], v[119:120]
	s_delay_alu instid0(VALU_DEP_1) | instskip(SKIP_1) | instid1(VALU_DEP_1)
	v_add_f64_e32 v[4:5], v[121:122], v[4:5]
	v_mul_f64_e32 v[121:122], s[34:35], v[34:35]
	v_fma_f64 v[123:124], v[58:59], s[2:3], -v[121:122]
	s_delay_alu instid0(VALU_DEP_1) | instskip(SKIP_1) | instid1(VALU_DEP_1)
	v_add_f64_e32 v[6:7], v[123:124], v[6:7]
	v_mul_f64_e32 v[123:124], s[0:1], v[8:9]
	v_fma_f64 v[125:126], v[18:19], s[26:27], v[123:124]
	s_delay_alu instid0(VALU_DEP_1) | instskip(SKIP_1) | instid1(VALU_DEP_1)
	v_add_f64_e32 v[4:5], v[125:126], v[4:5]
	v_mul_f64_e32 v[125:126], s[26:27], v[12:13]
	v_fma_f64 v[127:128], v[14:15], s[0:1], -v[125:126]
	s_delay_alu instid0(VALU_DEP_1) | instskip(SKIP_1) | instid1(VALU_DEP_1)
	v_add_f64_e32 v[127:128], v[127:128], v[6:7]
	v_fma_f64 v[6:7], v[30:31], s[24:25], v[129:130]
	v_add_f64_e32 v[6:7], v[6:7], v[4:5]
	v_fma_f64 v[4:5], v[20:21], s[12:13], -v[131:132]
	;; [unrolled: 51-line block ×3, first 2 shown]
	s_delay_alu instid0(VALU_DEP_1) | instskip(SKIP_1) | instid1(VALU_DEP_1)
	v_add_f64_e32 v[4:5], v[4:5], v[151:152]
	v_mad_co_u64_u32 v[151:152], null, s16, v157, 0
	v_mad_co_u64_u32 v[157:158], null, s17, v157, v[152:153]
	s_delay_alu instid0(VALU_DEP_1) | instskip(SKIP_2) | instid1(VALU_DEP_3)
	v_mov_b32_e32 v152, v157
	v_mul_f64_e32 v[157:158], s[6:7], v[46:47]
	v_mul_f64_e32 v[46:47], s[2:3], v[46:47]
	v_lshlrev_b64_e32 v[151:152], 4, v[151:152]
	s_delay_alu instid0(VALU_DEP_1) | instskip(SKIP_1) | instid1(VALU_DEP_2)
	v_add_co_u32 v151, vcc_lo, v2, v151
	s_wait_alu 0xfffd
	v_add_co_ci_u32_e32 v152, vcc_lo, v3, v152, vcc_lo
	global_store_b128 v[151:152], v[4:7], off
	v_mul_f64_e32 v[151:152], s[12:13], v[26:27]
	v_mul_f64_e32 v[26:27], s[20:21], v[26:27]
	v_fma_f64 v[6:7], v[52:53], s[30:31], v[157:158]
	s_delay_alu instid0(VALU_DEP_3) | instskip(NEXT) | instid1(VALU_DEP_1)
	v_fma_f64 v[4:5], v[42:43], s[24:25], v[151:152]
	v_add_f64_e32 v[4:5], v[0:1], v[4:5]
	s_delay_alu instid0(VALU_DEP_1) | instskip(SKIP_1) | instid1(VALU_DEP_1)
	v_add_f64_e32 v[4:5], v[6:7], v[4:5]
	v_fma_f64 v[6:7], v[40:41], s[12:13], -v[159:160]
	v_add_f64_e32 v[6:7], v[24:25], v[6:7]
	s_delay_alu instid0(VALU_DEP_1) | instskip(SKIP_2) | instid1(VALU_DEP_2)
	v_add_f64_e32 v[6:7], v[163:164], v[6:7]
	v_mul_f64_e32 v[163:164], s[0:1], v[32:33]
	v_mul_f64_e32 v[32:33], s[12:13], v[32:33]
	v_fma_f64 v[165:166], v[54:55], s[26:27], v[163:164]
	s_delay_alu instid0(VALU_DEP_1) | instskip(SKIP_2) | instid1(VALU_DEP_2)
	v_add_f64_e32 v[4:5], v[165:166], v[4:5]
	v_mul_f64_e32 v[165:166], s[26:27], v[36:37]
	v_mul_f64_e32 v[36:37], s[24:25], v[36:37]
	v_fma_f64 v[167:168], v[56:57], s[0:1], -v[165:166]
	s_delay_alu instid0(VALU_DEP_1) | instskip(SKIP_2) | instid1(VALU_DEP_2)
	v_add_f64_e32 v[6:7], v[167:168], v[6:7]
	v_mul_f64_e32 v[167:168], s[20:21], v[16:17]
	v_mul_f64_e32 v[16:17], s[0:1], v[16:17]
	v_fma_f64 v[169:170], v[38:39], s[22:23], v[167:168]
	s_delay_alu instid0(VALU_DEP_1) | instskip(SKIP_2) | instid1(VALU_DEP_2)
	v_add_f64_e32 v[4:5], v[169:170], v[4:5]
	v_mul_f64_e32 v[169:170], s[22:23], v[34:35]
	v_mul_f64_e32 v[34:35], s[38:39], v[34:35]
	v_fma_f64 v[171:172], v[58:59], s[20:21], -v[169:170]
	;; [unrolled: 10-line block ×3, first 2 shown]
	s_delay_alu instid0(VALU_DEP_1) | instskip(SKIP_1) | instid1(VALU_DEP_1)
	v_add_f64_e32 v[175:176], v[175:176], v[6:7]
	v_fma_f64 v[6:7], v[30:31], s[28:29], v[177:178]
	v_add_f64_e32 v[6:7], v[6:7], v[4:5]
	v_fma_f64 v[4:5], v[20:21], s[8:9], -v[179:180]
	s_delay_alu instid0(VALU_DEP_1) | instskip(SKIP_1) | instid1(VALU_DEP_1)
	v_add_f64_e32 v[4:5], v[4:5], v[175:176]
	v_mad_co_u64_u32 v[175:176], null, s16, v181, 0
	v_mad_co_u64_u32 v[181:182], null, s17, v181, v[176:177]
	s_delay_alu instid0(VALU_DEP_1) | instskip(NEXT) | instid1(VALU_DEP_1)
	v_dual_mov_b32 v176, v181 :: v_dual_add_nc_u32 v181, 0x186, v88
	v_lshlrev_b64_e32 v[175:176], 4, v[175:176]
	s_delay_alu instid0(VALU_DEP_1) | instskip(SKIP_1) | instid1(VALU_DEP_2)
	v_add_co_u32 v175, vcc_lo, v2, v175
	s_wait_alu 0xfffd
	v_add_co_ci_u32_e32 v176, vcc_lo, v3, v176, vcc_lo
	global_store_b128 v[175:176], v[4:7], off
	v_fma_f64 v[4:5], v[42:43], s[36:37], v[26:27]
	v_fma_f64 v[6:7], v[52:53], s[34:35], v[46:47]
	v_fma_f64 v[175:176], v[44:45], s[2:3], -v[50:51]
	s_delay_alu instid0(VALU_DEP_3) | instskip(NEXT) | instid1(VALU_DEP_1)
	v_add_f64_e32 v[4:5], v[0:1], v[4:5]
	v_add_f64_e32 v[4:5], v[6:7], v[4:5]
	v_fma_f64 v[6:7], v[40:41], s[20:21], -v[28:29]
	s_delay_alu instid0(VALU_DEP_1) | instskip(NEXT) | instid1(VALU_DEP_1)
	v_add_f64_e32 v[6:7], v[24:25], v[6:7]
	v_add_f64_e32 v[6:7], v[175:176], v[6:7]
	v_fma_f64 v[175:176], v[54:55], s[24:25], v[32:33]
	s_delay_alu instid0(VALU_DEP_1) | instskip(SKIP_1) | instid1(VALU_DEP_1)
	v_add_f64_e32 v[4:5], v[175:176], v[4:5]
	v_fma_f64 v[175:176], v[56:57], s[12:13], -v[36:37]
	v_add_f64_e32 v[6:7], v[175:176], v[6:7]
	v_fma_f64 v[175:176], v[38:39], s[38:39], v[16:17]
	v_fma_f64 v[16:17], v[38:39], s[26:27], v[16:17]
	s_delay_alu instid0(VALU_DEP_2) | instskip(SKIP_1) | instid1(VALU_DEP_1)
	v_add_f64_e32 v[4:5], v[175:176], v[4:5]
	v_fma_f64 v[175:176], v[58:59], s[0:1], -v[34:35]
	v_add_f64_e32 v[6:7], v[175:176], v[6:7]
	v_fma_f64 v[175:176], v[18:19], s[28:29], v[8:9]
	v_fma_f64 v[8:9], v[18:19], s[10:11], v[8:9]
	s_delay_alu instid0(VALU_DEP_2) | instskip(SKIP_1) | instid1(VALU_DEP_1)
	v_add_f64_e32 v[4:5], v[175:176], v[4:5]
	v_fma_f64 v[175:176], v[14:15], s[8:9], -v[12:13]
	v_add_f64_e32 v[175:176], v[175:176], v[6:7]
	v_fma_f64 v[6:7], v[30:31], s[30:31], v[48:49]
	s_delay_alu instid0(VALU_DEP_1) | instskip(SKIP_1) | instid1(VALU_DEP_1)
	v_add_f64_e32 v[6:7], v[6:7], v[4:5]
	v_fma_f64 v[4:5], v[20:21], s[6:7], -v[22:23]
	v_add_f64_e32 v[4:5], v[4:5], v[175:176]
	v_mad_co_u64_u32 v[175:176], null, s16, v181, 0
	s_delay_alu instid0(VALU_DEP_1) | instskip(NEXT) | instid1(VALU_DEP_1)
	v_mad_co_u64_u32 v[181:182], null, s17, v181, v[176:177]
	v_mov_b32_e32 v176, v181
	s_delay_alu instid0(VALU_DEP_1) | instskip(NEXT) | instid1(VALU_DEP_1)
	v_lshlrev_b64_e32 v[175:176], 4, v[175:176]
	v_add_co_u32 v175, vcc_lo, v2, v175
	s_wait_alu 0xfffd
	s_delay_alu instid0(VALU_DEP_2) | instskip(SKIP_4) | instid1(VALU_DEP_3)
	v_add_co_ci_u32_e32 v176, vcc_lo, v3, v176, vcc_lo
	global_store_b128 v[175:176], v[4:7], off
	v_fma_f64 v[4:5], v[42:43], s[22:23], v[26:27]
	v_fma_f64 v[6:7], v[52:53], s[4:5], v[46:47]
	;; [unrolled: 1-line block ×3, first 2 shown]
	v_add_f64_e32 v[4:5], v[0:1], v[4:5]
	s_delay_alu instid0(VALU_DEP_1) | instskip(SKIP_1) | instid1(VALU_DEP_1)
	v_add_f64_e32 v[4:5], v[6:7], v[4:5]
	v_fma_f64 v[6:7], v[40:41], s[20:21], v[28:29]
	v_add_f64_e32 v[6:7], v[24:25], v[6:7]
	s_delay_alu instid0(VALU_DEP_1) | instskip(SKIP_1) | instid1(VALU_DEP_1)
	v_add_f64_e32 v[6:7], v[26:27], v[6:7]
	v_fma_f64 v[26:27], v[54:55], s[14:15], v[32:33]
	v_add_f64_e32 v[4:5], v[26:27], v[4:5]
	v_fma_f64 v[26:27], v[56:57], s[12:13], v[36:37]
	s_delay_alu instid0(VALU_DEP_2) | instskip(NEXT) | instid1(VALU_DEP_2)
	v_add_f64_e32 v[4:5], v[16:17], v[4:5]
	v_add_f64_e32 v[6:7], v[26:27], v[6:7]
	v_fma_f64 v[16:17], v[58:59], s[0:1], v[34:35]
	v_fma_f64 v[26:27], v[44:45], s[0:1], v[66:67]
	s_delay_alu instid0(VALU_DEP_4) | instskip(SKIP_1) | instid1(VALU_DEP_4)
	v_add_f64_e32 v[4:5], v[8:9], v[4:5]
	v_fma_f64 v[8:9], v[14:15], s[8:9], v[12:13]
	v_add_f64_e32 v[6:7], v[16:17], v[6:7]
	v_fma_f64 v[12:13], v[20:21], s[6:7], v[22:23]
	v_fma_f64 v[16:17], v[20:21], s[2:3], v[107:108]
	;; [unrolled: 1-line block ×3, first 2 shown]
	s_delay_alu instid0(VALU_DEP_4) | instskip(SKIP_1) | instid1(VALU_DEP_1)
	v_add_f64_e32 v[8:9], v[8:9], v[6:7]
	v_fma_f64 v[6:7], v[30:31], s[18:19], v[48:49]
	v_add_f64_e32 v[6:7], v[6:7], v[4:5]
	s_delay_alu instid0(VALU_DEP_3) | instskip(SKIP_1) | instid1(VALU_DEP_1)
	v_add_f64_e32 v[4:5], v[12:13], v[8:9]
	v_add_nc_u32_e32 v12, 0x1c7, v88
	v_mad_co_u64_u32 v[8:9], null, s16, v12, 0
	s_delay_alu instid0(VALU_DEP_1) | instskip(NEXT) | instid1(VALU_DEP_1)
	v_mad_co_u64_u32 v[12:13], null, s17, v12, v[9:10]
	v_mov_b32_e32 v9, v12
	v_fma_f64 v[12:13], v[20:21], s[8:9], v[179:180]
	s_delay_alu instid0(VALU_DEP_2) | instskip(NEXT) | instid1(VALU_DEP_1)
	v_lshlrev_b64_e32 v[8:9], 4, v[8:9]
	v_add_co_u32 v8, vcc_lo, v2, v8
	s_wait_alu 0xfffd
	s_delay_alu instid0(VALU_DEP_2) | instskip(SKIP_4) | instid1(VALU_DEP_3)
	v_add_co_ci_u32_e32 v9, vcc_lo, v3, v9, vcc_lo
	global_store_b128 v[8:9], v[4:7], off
	v_fma_f64 v[4:5], v[42:43], s[14:15], v[151:152]
	v_fma_f64 v[6:7], v[52:53], s[18:19], v[157:158]
	;; [unrolled: 1-line block ×3, first 2 shown]
	v_add_f64_e32 v[4:5], v[0:1], v[4:5]
	s_delay_alu instid0(VALU_DEP_1) | instskip(SKIP_1) | instid1(VALU_DEP_1)
	v_add_f64_e32 v[4:5], v[6:7], v[4:5]
	v_fma_f64 v[6:7], v[40:41], s[12:13], v[159:160]
	v_add_f64_e32 v[6:7], v[24:25], v[6:7]
	s_delay_alu instid0(VALU_DEP_1) | instskip(SKIP_1) | instid1(VALU_DEP_1)
	v_add_f64_e32 v[6:7], v[8:9], v[6:7]
	v_fma_f64 v[8:9], v[54:55], s[38:39], v[163:164]
	v_add_f64_e32 v[4:5], v[8:9], v[4:5]
	v_fma_f64 v[8:9], v[56:57], s[0:1], v[165:166]
	s_delay_alu instid0(VALU_DEP_1) | instskip(SKIP_1) | instid1(VALU_DEP_1)
	v_add_f64_e32 v[6:7], v[8:9], v[6:7]
	v_fma_f64 v[8:9], v[38:39], s[36:37], v[167:168]
	v_add_f64_e32 v[4:5], v[8:9], v[4:5]
	v_fma_f64 v[8:9], v[58:59], s[20:21], v[169:170]
	;; [unrolled: 5-line block ×3, first 2 shown]
	s_delay_alu instid0(VALU_DEP_1) | instskip(SKIP_1) | instid1(VALU_DEP_1)
	v_add_f64_e32 v[8:9], v[8:9], v[6:7]
	v_fma_f64 v[6:7], v[30:31], s[10:11], v[177:178]
	v_add_f64_e32 v[6:7], v[6:7], v[4:5]
	s_delay_alu instid0(VALU_DEP_3) | instskip(SKIP_1) | instid1(VALU_DEP_1)
	v_add_f64_e32 v[4:5], v[12:13], v[8:9]
	v_add_nc_u32_e32 v12, 0x208, v88
	v_mad_co_u64_u32 v[8:9], null, s16, v12, 0
	s_delay_alu instid0(VALU_DEP_1) | instskip(NEXT) | instid1(VALU_DEP_1)
	v_mad_co_u64_u32 v[12:13], null, s17, v12, v[9:10]
	v_mov_b32_e32 v9, v12
	v_fma_f64 v[12:13], v[20:21], s[0:1], v[155:156]
	s_delay_alu instid0(VALU_DEP_2) | instskip(NEXT) | instid1(VALU_DEP_1)
	v_lshlrev_b64_e32 v[8:9], 4, v[8:9]
	v_add_co_u32 v8, vcc_lo, v2, v8
	s_wait_alu 0xfffd
	s_delay_alu instid0(VALU_DEP_2) | instskip(SKIP_4) | instid1(VALU_DEP_3)
	v_add_co_ci_u32_e32 v9, vcc_lo, v3, v9, vcc_lo
	global_store_b128 v[8:9], v[4:7], off
	v_fma_f64 v[4:5], v[42:43], s[10:11], v[127:128]
	v_fma_f64 v[6:7], v[52:53], s[24:25], v[133:134]
	;; [unrolled: 1-line block ×3, first 2 shown]
	v_add_f64_e32 v[4:5], v[0:1], v[4:5]
	s_delay_alu instid0(VALU_DEP_1) | instskip(SKIP_1) | instid1(VALU_DEP_1)
	v_add_f64_e32 v[4:5], v[6:7], v[4:5]
	v_fma_f64 v[6:7], v[40:41], s[8:9], v[135:136]
	v_add_f64_e32 v[6:7], v[24:25], v[6:7]
	s_delay_alu instid0(VALU_DEP_1) | instskip(SKIP_1) | instid1(VALU_DEP_1)
	v_add_f64_e32 v[6:7], v[8:9], v[6:7]
	v_fma_f64 v[8:9], v[54:55], s[4:5], v[139:140]
	v_add_f64_e32 v[4:5], v[8:9], v[4:5]
	v_fma_f64 v[8:9], v[56:57], s[2:3], v[141:142]
	s_delay_alu instid0(VALU_DEP_1) | instskip(SKIP_1) | instid1(VALU_DEP_1)
	v_add_f64_e32 v[6:7], v[8:9], v[6:7]
	v_fma_f64 v[8:9], v[38:39], s[30:31], v[143:144]
	v_add_f64_e32 v[4:5], v[8:9], v[4:5]
	v_fma_f64 v[8:9], v[58:59], s[6:7], v[145:146]
	;; [unrolled: 5-line block ×3, first 2 shown]
	s_delay_alu instid0(VALU_DEP_1) | instskip(SKIP_1) | instid1(VALU_DEP_1)
	v_add_f64_e32 v[8:9], v[8:9], v[6:7]
	v_fma_f64 v[6:7], v[30:31], s[26:27], v[153:154]
	v_add_f64_e32 v[6:7], v[6:7], v[4:5]
	s_delay_alu instid0(VALU_DEP_3) | instskip(SKIP_1) | instid1(VALU_DEP_1)
	v_add_f64_e32 v[4:5], v[12:13], v[8:9]
	v_add_nc_u32_e32 v12, 0x249, v88
	v_mad_co_u64_u32 v[8:9], null, s16, v12, 0
	s_delay_alu instid0(VALU_DEP_1) | instskip(NEXT) | instid1(VALU_DEP_1)
	v_mad_co_u64_u32 v[12:13], null, s17, v12, v[9:10]
	v_mov_b32_e32 v9, v12
	v_fma_f64 v[12:13], v[20:21], s[12:13], v[131:132]
	v_fma_f64 v[20:21], v[20:21], s[20:21], v[82:83]
	s_delay_alu instid0(VALU_DEP_3) | instskip(NEXT) | instid1(VALU_DEP_1)
	v_lshlrev_b64_e32 v[8:9], 4, v[8:9]
	v_add_co_u32 v8, vcc_lo, v2, v8
	s_wait_alu 0xfffd
	s_delay_alu instid0(VALU_DEP_2) | instskip(SKIP_4) | instid1(VALU_DEP_3)
	v_add_co_ci_u32_e32 v9, vcc_lo, v3, v9, vcc_lo
	global_store_b128 v[8:9], v[4:7], off
	v_fma_f64 v[4:5], v[42:43], s[30:31], v[103:104]
	v_fma_f64 v[6:7], v[52:53], s[22:23], v[109:110]
	v_fma_f64 v[8:9], v[44:45], s[20:21], v[113:114]
	v_add_f64_e32 v[4:5], v[0:1], v[4:5]
	s_delay_alu instid0(VALU_DEP_1) | instskip(SKIP_1) | instid1(VALU_DEP_1)
	v_add_f64_e32 v[4:5], v[6:7], v[4:5]
	v_fma_f64 v[6:7], v[40:41], s[6:7], v[111:112]
	v_add_f64_e32 v[6:7], v[24:25], v[6:7]
	s_delay_alu instid0(VALU_DEP_1) | instskip(SKIP_1) | instid1(VALU_DEP_1)
	v_add_f64_e32 v[6:7], v[8:9], v[6:7]
	v_fma_f64 v[8:9], v[54:55], s[28:29], v[115:116]
	v_add_f64_e32 v[4:5], v[8:9], v[4:5]
	v_fma_f64 v[8:9], v[56:57], s[8:9], v[117:118]
	s_delay_alu instid0(VALU_DEP_1) | instskip(SKIP_1) | instid1(VALU_DEP_1)
	v_add_f64_e32 v[6:7], v[8:9], v[6:7]
	v_fma_f64 v[8:9], v[38:39], s[4:5], v[119:120]
	v_add_f64_e32 v[4:5], v[8:9], v[4:5]
	v_fma_f64 v[8:9], v[58:59], s[2:3], v[121:122]
	;; [unrolled: 5-line block ×3, first 2 shown]
	s_delay_alu instid0(VALU_DEP_1) | instskip(SKIP_1) | instid1(VALU_DEP_1)
	v_add_f64_e32 v[8:9], v[8:9], v[6:7]
	v_fma_f64 v[6:7], v[30:31], s[14:15], v[129:130]
	v_add_f64_e32 v[6:7], v[6:7], v[4:5]
	s_delay_alu instid0(VALU_DEP_3) | instskip(SKIP_3) | instid1(VALU_DEP_3)
	v_add_f64_e32 v[4:5], v[12:13], v[8:9]
	v_fma_f64 v[8:9], v[42:43], s[38:39], v[10:11]
	v_fma_f64 v[10:11], v[52:53], s[10:11], v[84:85]
	;; [unrolled: 1-line block ×3, first 2 shown]
	v_add_f64_e32 v[8:9], v[0:1], v[8:9]
	s_delay_alu instid0(VALU_DEP_1) | instskip(SKIP_1) | instid1(VALU_DEP_1)
	v_add_f64_e32 v[8:9], v[10:11], v[8:9]
	v_fma_f64 v[10:11], v[40:41], s[0:1], v[86:87]
	v_add_f64_e32 v[10:11], v[24:25], v[10:11]
	s_delay_alu instid0(VALU_DEP_1) | instskip(SKIP_1) | instid1(VALU_DEP_1)
	v_add_f64_e32 v[10:11], v[12:13], v[10:11]
	v_fma_f64 v[12:13], v[54:55], s[22:23], v[91:92]
	v_add_f64_e32 v[8:9], v[12:13], v[8:9]
	v_fma_f64 v[12:13], v[56:57], s[20:21], v[93:94]
	s_delay_alu instid0(VALU_DEP_1) | instskip(SKIP_1) | instid1(VALU_DEP_1)
	v_add_f64_e32 v[10:11], v[12:13], v[10:11]
	v_fma_f64 v[12:13], v[38:39], s[24:25], v[95:96]
	v_add_f64_e32 v[8:9], v[12:13], v[8:9]
	v_fma_f64 v[12:13], v[58:59], s[12:13], v[97:98]
	;; [unrolled: 5-line block ×3, first 2 shown]
	v_fma_f64 v[14:15], v[14:15], s[12:13], v[78:79]
	s_delay_alu instid0(VALU_DEP_2) | instskip(SKIP_1) | instid1(VALU_DEP_1)
	v_add_f64_e32 v[12:13], v[12:13], v[10:11]
	v_fma_f64 v[10:11], v[30:31], s[4:5], v[105:106]
	v_add_f64_e32 v[10:11], v[10:11], v[8:9]
	s_delay_alu instid0(VALU_DEP_3) | instskip(SKIP_2) | instid1(VALU_DEP_2)
	v_add_f64_e32 v[8:9], v[16:17], v[12:13]
	v_fma_f64 v[12:13], v[42:43], s[34:35], v[60:61]
	v_fma_f64 v[16:17], v[40:41], s[2:3], v[64:65]
	v_add_f64_e32 v[0:1], v[0:1], v[12:13]
	s_delay_alu instid0(VALU_DEP_2) | instskip(SKIP_2) | instid1(VALU_DEP_4)
	v_add_f64_e32 v[12:13], v[24:25], v[16:17]
	v_fma_f64 v[16:17], v[54:55], s[30:31], v[68:69]
	v_fma_f64 v[24:25], v[56:57], s[6:7], v[70:71]
	v_add_f64_e32 v[0:1], v[22:23], v[0:1]
	s_delay_alu instid0(VALU_DEP_4) | instskip(SKIP_2) | instid1(VALU_DEP_4)
	v_add_f64_e32 v[12:13], v[26:27], v[12:13]
	v_fma_f64 v[22:23], v[38:39], s[10:11], v[72:73]
	v_fma_f64 v[26:27], v[58:59], s[8:9], v[74:75]
	v_add_f64_e32 v[0:1], v[16:17], v[0:1]
	s_delay_alu instid0(VALU_DEP_4) | instskip(SKIP_2) | instid1(VALU_DEP_4)
	v_add_f64_e32 v[12:13], v[24:25], v[12:13]
	v_fma_f64 v[16:17], v[18:19], s[14:15], v[76:77]
	v_fma_f64 v[18:19], v[30:31], s[22:23], v[80:81]
	v_add_f64_e32 v[0:1], v[22:23], v[0:1]
	s_delay_alu instid0(VALU_DEP_4) | instskip(NEXT) | instid1(VALU_DEP_2)
	v_add_f64_e32 v[12:13], v[26:27], v[12:13]
	v_add_f64_e32 v[0:1], v[16:17], v[0:1]
	s_delay_alu instid0(VALU_DEP_2) | instskip(SKIP_1) | instid1(VALU_DEP_3)
	v_add_f64_e32 v[12:13], v[14:15], v[12:13]
	v_add_nc_u32_e32 v16, 0x28a, v88
	v_add_f64_e32 v[14:15], v[18:19], v[0:1]
	s_delay_alu instid0(VALU_DEP_2) | instskip(SKIP_3) | instid1(VALU_DEP_4)
	v_mad_co_u64_u32 v[0:1], null, s16, v16, 0
	v_add_nc_u32_e32 v18, 0x2cb, v88
	v_add_f64_e32 v[12:13], v[20:21], v[12:13]
	v_add_nc_u32_e32 v20, 0x30c, v88
	v_mad_co_u64_u32 v[16:17], null, s17, v16, v[1:2]
	s_delay_alu instid0(VALU_DEP_1) | instskip(SKIP_1) | instid1(VALU_DEP_2)
	v_mov_b32_e32 v1, v16
	v_mad_co_u64_u32 v[16:17], null, s16, v18, 0
	v_lshlrev_b64_e32 v[0:1], 4, v[0:1]
	s_delay_alu instid0(VALU_DEP_2) | instskip(SKIP_1) | instid1(VALU_DEP_3)
	v_mad_co_u64_u32 v[17:18], null, s17, v18, v[17:18]
	v_mad_co_u64_u32 v[18:19], null, s16, v20, 0
	v_add_co_u32 v0, vcc_lo, v2, v0
	s_wait_alu 0xfffd
	s_delay_alu instid0(VALU_DEP_4) | instskip(NEXT) | instid1(VALU_DEP_4)
	v_add_co_ci_u32_e32 v1, vcc_lo, v3, v1, vcc_lo
	v_lshlrev_b64_e32 v[16:17], 4, v[16:17]
	s_delay_alu instid0(VALU_DEP_4) | instskip(NEXT) | instid1(VALU_DEP_2)
	v_mad_co_u64_u32 v[19:20], null, s17, v20, v[19:20]
	v_add_co_u32 v16, vcc_lo, v2, v16
	s_wait_alu 0xfffd
	s_delay_alu instid0(VALU_DEP_3) | instskip(NEXT) | instid1(VALU_DEP_3)
	v_add_co_ci_u32_e32 v17, vcc_lo, v3, v17, vcc_lo
	v_lshlrev_b64_e32 v[18:19], 4, v[18:19]
	s_delay_alu instid0(VALU_DEP_1) | instskip(SKIP_1) | instid1(VALU_DEP_2)
	v_add_co_u32 v2, vcc_lo, v2, v18
	s_wait_alu 0xfffd
	v_add_co_ci_u32_e32 v3, vcc_lo, v3, v19, vcc_lo
	s_clause 0x2
	global_store_b128 v[0:1], v[4:7], off
	global_store_b128 v[16:17], v[8:11], off
	;; [unrolled: 1-line block ×3, first 2 shown]
.LBB0_22:
	s_nop 0
	s_sendmsg sendmsg(MSG_DEALLOC_VGPRS)
	s_endpgm
	.section	.rodata,"a",@progbits
	.p2align	6, 0x0
	.amdhsa_kernel fft_rtc_fwd_len845_factors_13_5_13_wgs_195_tpt_65_halfLds_dp_op_CI_CI_sbrr_dirReg
		.amdhsa_group_segment_fixed_size 0
		.amdhsa_private_segment_fixed_size 0
		.amdhsa_kernarg_size 104
		.amdhsa_user_sgpr_count 2
		.amdhsa_user_sgpr_dispatch_ptr 0
		.amdhsa_user_sgpr_queue_ptr 0
		.amdhsa_user_sgpr_kernarg_segment_ptr 1
		.amdhsa_user_sgpr_dispatch_id 0
		.amdhsa_user_sgpr_private_segment_size 0
		.amdhsa_wavefront_size32 1
		.amdhsa_uses_dynamic_stack 0
		.amdhsa_enable_private_segment 0
		.amdhsa_system_sgpr_workgroup_id_x 1
		.amdhsa_system_sgpr_workgroup_id_y 0
		.amdhsa_system_sgpr_workgroup_id_z 0
		.amdhsa_system_sgpr_workgroup_info 0
		.amdhsa_system_vgpr_workitem_id 0
		.amdhsa_next_free_vgpr 183
		.amdhsa_next_free_sgpr 48
		.amdhsa_reserve_vcc 1
		.amdhsa_float_round_mode_32 0
		.amdhsa_float_round_mode_16_64 0
		.amdhsa_float_denorm_mode_32 3
		.amdhsa_float_denorm_mode_16_64 3
		.amdhsa_fp16_overflow 0
		.amdhsa_workgroup_processor_mode 1
		.amdhsa_memory_ordered 1
		.amdhsa_forward_progress 0
		.amdhsa_round_robin_scheduling 0
		.amdhsa_exception_fp_ieee_invalid_op 0
		.amdhsa_exception_fp_denorm_src 0
		.amdhsa_exception_fp_ieee_div_zero 0
		.amdhsa_exception_fp_ieee_overflow 0
		.amdhsa_exception_fp_ieee_underflow 0
		.amdhsa_exception_fp_ieee_inexact 0
		.amdhsa_exception_int_div_zero 0
	.end_amdhsa_kernel
	.text
.Lfunc_end0:
	.size	fft_rtc_fwd_len845_factors_13_5_13_wgs_195_tpt_65_halfLds_dp_op_CI_CI_sbrr_dirReg, .Lfunc_end0-fft_rtc_fwd_len845_factors_13_5_13_wgs_195_tpt_65_halfLds_dp_op_CI_CI_sbrr_dirReg
                                        ; -- End function
	.section	.AMDGPU.csdata,"",@progbits
; Kernel info:
; codeLenInByte = 12696
; NumSgprs: 50
; NumVgprs: 183
; ScratchSize: 0
; MemoryBound: 1
; FloatMode: 240
; IeeeMode: 1
; LDSByteSize: 0 bytes/workgroup (compile time only)
; SGPRBlocks: 6
; VGPRBlocks: 22
; NumSGPRsForWavesPerEU: 50
; NumVGPRsForWavesPerEU: 183
; Occupancy: 8
; WaveLimiterHint : 1
; COMPUTE_PGM_RSRC2:SCRATCH_EN: 0
; COMPUTE_PGM_RSRC2:USER_SGPR: 2
; COMPUTE_PGM_RSRC2:TRAP_HANDLER: 0
; COMPUTE_PGM_RSRC2:TGID_X_EN: 1
; COMPUTE_PGM_RSRC2:TGID_Y_EN: 0
; COMPUTE_PGM_RSRC2:TGID_Z_EN: 0
; COMPUTE_PGM_RSRC2:TIDIG_COMP_CNT: 0
	.text
	.p2alignl 7, 3214868480
	.fill 96, 4, 3214868480
	.type	__hip_cuid_1475d8779e6da914,@object ; @__hip_cuid_1475d8779e6da914
	.section	.bss,"aw",@nobits
	.globl	__hip_cuid_1475d8779e6da914
__hip_cuid_1475d8779e6da914:
	.byte	0                               ; 0x0
	.size	__hip_cuid_1475d8779e6da914, 1

	.ident	"AMD clang version 19.0.0git (https://github.com/RadeonOpenCompute/llvm-project roc-6.4.0 25133 c7fe45cf4b819c5991fe208aaa96edf142730f1d)"
	.section	".note.GNU-stack","",@progbits
	.addrsig
	.addrsig_sym __hip_cuid_1475d8779e6da914
	.amdgpu_metadata
---
amdhsa.kernels:
  - .args:
      - .actual_access:  read_only
        .address_space:  global
        .offset:         0
        .size:           8
        .value_kind:     global_buffer
      - .offset:         8
        .size:           8
        .value_kind:     by_value
      - .actual_access:  read_only
        .address_space:  global
        .offset:         16
        .size:           8
        .value_kind:     global_buffer
      - .actual_access:  read_only
        .address_space:  global
        .offset:         24
        .size:           8
        .value_kind:     global_buffer
      - .actual_access:  read_only
        .address_space:  global
        .offset:         32
        .size:           8
        .value_kind:     global_buffer
      - .offset:         40
        .size:           8
        .value_kind:     by_value
      - .actual_access:  read_only
        .address_space:  global
        .offset:         48
        .size:           8
        .value_kind:     global_buffer
      - .actual_access:  read_only
        .address_space:  global
        .offset:         56
        .size:           8
        .value_kind:     global_buffer
      - .offset:         64
        .size:           4
        .value_kind:     by_value
      - .actual_access:  read_only
        .address_space:  global
        .offset:         72
        .size:           8
        .value_kind:     global_buffer
      - .actual_access:  read_only
        .address_space:  global
        .offset:         80
        .size:           8
        .value_kind:     global_buffer
      - .actual_access:  read_only
        .address_space:  global
        .offset:         88
        .size:           8
        .value_kind:     global_buffer
      - .actual_access:  write_only
        .address_space:  global
        .offset:         96
        .size:           8
        .value_kind:     global_buffer
    .group_segment_fixed_size: 0
    .kernarg_segment_align: 8
    .kernarg_segment_size: 104
    .language:       OpenCL C
    .language_version:
      - 2
      - 0
    .max_flat_workgroup_size: 195
    .name:           fft_rtc_fwd_len845_factors_13_5_13_wgs_195_tpt_65_halfLds_dp_op_CI_CI_sbrr_dirReg
    .private_segment_fixed_size: 0
    .sgpr_count:     50
    .sgpr_spill_count: 0
    .symbol:         fft_rtc_fwd_len845_factors_13_5_13_wgs_195_tpt_65_halfLds_dp_op_CI_CI_sbrr_dirReg.kd
    .uniform_work_group_size: 1
    .uses_dynamic_stack: false
    .vgpr_count:     183
    .vgpr_spill_count: 0
    .wavefront_size: 32
    .workgroup_processor_mode: 1
amdhsa.target:   amdgcn-amd-amdhsa--gfx1201
amdhsa.version:
  - 1
  - 2
...

	.end_amdgpu_metadata
